;; amdgpu-corpus repo=ROCm/rocFFT kind=compiled arch=gfx950 opt=O3
	.text
	.amdgcn_target "amdgcn-amd-amdhsa--gfx950"
	.amdhsa_code_object_version 6
	.protected	bluestein_single_fwd_len51_dim1_dp_op_CI_CI ; -- Begin function bluestein_single_fwd_len51_dim1_dp_op_CI_CI
	.globl	bluestein_single_fwd_len51_dim1_dp_op_CI_CI
	.p2align	8
	.type	bluestein_single_fwd_len51_dim1_dp_op_CI_CI,@function
bluestein_single_fwd_len51_dim1_dp_op_CI_CI: ; @bluestein_single_fwd_len51_dim1_dp_op_CI_CI
; %bb.0:
	s_load_dwordx4 s[8:11], s[0:1], 0x28
	v_mul_u32_u24_e32 v1, 0xf10, v0
	v_lshrrev_b32_e32 v2, 16, v1
	v_mad_u64_u32 v[128:129], s[2:3], s2, 15, v[2:3]
	v_mov_b32_e32 v129, 0
	s_waitcnt lgkmcnt(0)
	v_cmp_gt_u64_e32 vcc, s[8:9], v[128:129]
	s_and_saveexec_b64 s[2:3], vcc
	s_cbranch_execz .LBB0_15
; %bb.1:
	v_mul_lo_u16_e32 v1, 17, v2
	s_mov_b32 s2, 0x88888889
	v_sub_u16_e32 v230, v0, v1
	v_mul_hi_u32 v0, v128, s2
	s_load_dwordx2 s[8:9], s[0:1], 0x0
	s_load_dwordx2 s[12:13], s[0:1], 0x38
	v_lshrrev_b32_e32 v0, 3, v0
	v_mul_lo_u32 v0, v0, 15
	v_sub_u32_e32 v0, v128, v0
	v_mul_u32_u24_e32 v231, 51, v0
	v_cmp_gt_u16_e32 vcc, 3, v230
	v_lshlrev_b32_e32 v226, 4, v230
	v_lshlrev_b32_e32 v232, 4, v231
	v_or_b32_e32 v229, 12, v230
	v_or_b32_e32 v228, 24, v230
	;; [unrolled: 1-line block ×4, first 2 shown]
	s_and_saveexec_b64 s[2:3], vcc
	s_cbranch_execz .LBB0_3
; %bb.2:
	s_load_dwordx2 s[4:5], s[0:1], 0x18
	v_mov_b32_e32 v0, s10
	v_mov_b32_e32 v1, s11
	;; [unrolled: 1-line block ×3, first 2 shown]
	s_waitcnt lgkmcnt(0)
	s_load_dwordx4 s[4:7], s[4:5], 0x0
	s_waitcnt lgkmcnt(0)
	v_mad_u64_u32 v[2:3], s[10:11], s6, v128, 0
	v_mad_u64_u32 v[4:5], s[10:11], s4, v230, 0
	v_mov_b32_e32 v6, v3
	v_mov_b32_e32 v8, v5
	v_mad_u64_u32 v[6:7], s[6:7], s7, v128, v[6:7]
	v_mov_b32_e32 v3, v6
	v_mad_u64_u32 v[6:7], s[6:7], s5, v230, v[8:9]
	v_mov_b32_e32 v5, v6
	v_lshl_add_u64 v[52:53], v[2:3], 4, v[0:1]
	v_lshl_add_u64 v[54:55], v[4:5], 4, v[52:53]
	global_load_dwordx4 v[0:3], v[54:55], off
	global_load_dwordx4 v[4:7], v226, s[8:9]
	global_load_dwordx4 v[12:15], v226, s[8:9] offset:48
	global_load_dwordx4 v[16:19], v226, s[8:9] offset:96
	;; [unrolled: 1-line block ×3, first 2 shown]
	v_mad_u64_u32 v[56:57], s[6:7], s4, v229, 0
	v_mov_b32_e32 v58, v57
	v_mad_u64_u32 v[58:59], s[6:7], s5, v229, v[58:59]
	s_mul_i32 s10, s5, 48
	v_mov_b32_e32 v57, v58
	v_mad_u64_u32 v[54:55], s[6:7], s4, 48, v[54:55]
	v_lshl_add_u64 v[56:57], v[56:57], 4, v[52:53]
	v_add_u32_e32 v55, s10, v55
	global_load_dwordx4 v[24:27], v226, s[8:9] offset:192
	global_load_dwordx4 v[20:23], v226, s[8:9] offset:240
	;; [unrolled: 1-line block ×8, first 2 shown]
	global_load_dwordx4 v[60:63], v[54:55], off
	v_mad_u64_u32 v[54:55], s[6:7], s4, 48, v[54:55]
	global_load_dwordx4 v[56:59], v[56:57], off
	v_add_u32_e32 v55, s10, v55
	v_mad_u64_u32 v[84:85], s[6:7], s4, v228, 0
	global_load_dwordx4 v[64:67], v[54:55], off
	v_mad_u64_u32 v[54:55], s[6:7], s4, 48, v[54:55]
	v_mov_b32_e32 v68, v85
	v_add_u32_e32 v55, s10, v55
	s_mul_i32 s11, s5, 0x60
	v_mad_u64_u32 v[80:81], s[6:7], s5, v228, v[68:69]
	global_load_dwordx4 v[68:71], v[54:55], off
	v_mad_u64_u32 v[54:55], s[6:7], s4, v108, v[54:55]
	v_add_u32_e32 v55, s11, v55
	v_mad_u64_u32 v[86:87], s[6:7], s4, v227, 0
	global_load_dwordx4 v[72:75], v[54:55], off
	v_mad_u64_u32 v[54:55], s[6:7], s4, 48, v[54:55]
	v_mov_b32_e32 v76, v87
	v_add_u32_e32 v55, s10, v55
	v_mad_u64_u32 v[88:89], s[6:7], s5, v227, v[76:77]
	global_load_dwordx4 v[76:79], v[54:55], off
	v_mad_u64_u32 v[54:55], s[6:7], s4, 48, v[54:55]
	v_add_u32_e32 v55, s10, v55
	v_mov_b32_e32 v85, v80
	global_load_dwordx4 v[80:83], v[54:55], off
	v_mov_b32_e32 v87, v88
	v_mad_u64_u32 v[54:55], s[6:7], s4, v108, v[54:55]
	v_lshl_add_u64 v[92:93], v[84:85], 4, v[52:53]
	v_lshl_add_u64 v[94:95], v[86:87], 4, v[52:53]
	v_add_u32_e32 v55, s11, v55
	global_load_dwordx4 v[84:87], v[92:93], off
	global_load_dwordx4 v[88:91], v[94:95], off
	s_waitcnt vmcnt(20)
	v_mul_f64 v[106:107], v[0:1], v[6:7]
	global_load_dwordx4 v[92:95], v[54:55], off
	v_mad_u64_u32 v[54:55], s[6:7], s4, 48, v[54:55]
	v_add_u32_e32 v55, s10, v55
	global_load_dwordx4 v[96:99], v[54:55], off
	v_mad_u64_u32 v[54:55], s[6:7], s4, 48, v[54:55]
	v_add_u32_e32 v55, s10, v55
	v_mul_f64 v[104:105], v[2:3], v[6:7]
	v_fma_f64 v[106:107], v[2:3], v[4:5], -v[106:107]
	v_mad_u64_u32 v[2:3], s[6:7], s4, v108, v[54:55]
	v_add_u32_e32 v3, s11, v3
	global_load_dwordx4 v[100:103], v[54:55], off
	global_load_dwordx4 v[108:111], v[2:3], off
	global_load_dwordx4 v[112:115], v226, s[8:9] offset:576
	global_load_dwordx4 v[116:119], v226, s[8:9] offset:624
	v_mad_u64_u32 v[2:3], s[6:7], s4, 48, v[2:3]
	v_add_u32_e32 v3, s10, v3
	global_load_dwordx4 v[120:123], v[2:3], off
	v_mad_u64_u32 v[2:3], s[6:7], s4, 48, v[2:3]
	v_add_u32_e32 v3, s10, v3
	global_load_dwordx4 v[124:127], v[2:3], off
	global_load_dwordx4 v[130:133], v226, s[8:9] offset:672
	global_load_dwordx4 v[134:137], v226, s[8:9] offset:720
	v_mad_u64_u32 v[2:3], s[6:7], s4, v129, 0
	v_mov_b32_e32 v6, v3
	v_mad_u64_u32 v[6:7], s[4:5], s5, v129, v[6:7]
	v_mov_b32_e32 v3, v6
	v_lshl_add_u64 v[2:3], v[2:3], 4, v[52:53]
	global_load_dwordx4 v[52:55], v[2:3], off
	global_load_dwordx4 v[138:141], v226, s[8:9] offset:768
	v_fmac_f64_e32 v[104:105], v[0:1], v[4:5]
	s_waitcnt vmcnt(20)
	v_mul_f64 v[4:5], v[62:63], v[14:15]
	v_mul_f64 v[6:7], v[60:61], v[14:15]
	s_waitcnt vmcnt(19)
	v_mul_f64 v[0:1], v[58:59], v[26:27]
	v_mul_f64 v[2:3], v[56:57], v[26:27]
	v_fmac_f64_e32 v[4:5], v[60:61], v[12:13]
	v_fma_f64 v[6:7], v[62:63], v[12:13], -v[6:7]
	s_waitcnt vmcnt(18)
	v_mul_f64 v[12:13], v[66:67], v[18:19]
	v_mul_f64 v[14:15], v[64:65], v[18:19]
	v_fmac_f64_e32 v[0:1], v[56:57], v[24:25]
	v_fma_f64 v[2:3], v[58:59], v[24:25], -v[2:3]
	v_fmac_f64_e32 v[12:13], v[64:65], v[16:17]
	v_fma_f64 v[14:15], v[66:67], v[16:17], -v[14:15]
	v_lshl_add_u32 v16, v230, 4, v232
	v_add_u32_e32 v17, v232, v226
	ds_write_b128 v16, v[104:107]
	ds_write_b128 v17, v[0:3] offset:192
	ds_write_b128 v17, v[4:7] offset:48
	;; [unrolled: 1-line block ×3, first 2 shown]
	s_waitcnt vmcnt(17)
	v_mul_f64 v[0:1], v[70:71], v[10:11]
	v_mul_f64 v[2:3], v[68:69], v[10:11]
	v_fmac_f64_e32 v[0:1], v[68:69], v[8:9]
	v_fma_f64 v[2:3], v[70:71], v[8:9], -v[2:3]
	ds_write_b128 v17, v[0:3] offset:144
	s_waitcnt vmcnt(16)
	v_mul_f64 v[0:1], v[74:75], v[22:23]
	v_mul_f64 v[2:3], v[72:73], v[22:23]
	v_fmac_f64_e32 v[0:1], v[72:73], v[20:21]
	v_fma_f64 v[2:3], v[74:75], v[20:21], -v[2:3]
	ds_write_b128 v17, v[0:3] offset:240
	;; [unrolled: 6-line block ×3, first 2 shown]
	s_waitcnt vmcnt(14)
	v_mul_f64 v[0:1], v[80:81], v[34:35]
	v_fma_f64 v[2:3], v[82:83], v[32:33], -v[0:1]
	v_mul_f64 v[0:1], v[82:83], v[34:35]
	v_fmac_f64_e32 v[0:1], v[80:81], v[32:33]
	ds_write_b128 v17, v[0:3] offset:336
	s_waitcnt vmcnt(13)
	v_mul_f64 v[0:1], v[86:87], v[38:39]
	v_mul_f64 v[2:3], v[84:85], v[38:39]
	v_fmac_f64_e32 v[0:1], v[84:85], v[36:37]
	v_fma_f64 v[2:3], v[86:87], v[36:37], -v[2:3]
	ds_write_b128 v17, v[0:3] offset:384
	s_waitcnt vmcnt(11)
	v_mul_f64 v[0:1], v[94:95], v[42:43]
	v_mul_f64 v[2:3], v[92:93], v[42:43]
	v_fmac_f64_e32 v[0:1], v[92:93], v[40:41]
	v_fma_f64 v[2:3], v[94:95], v[40:41], -v[2:3]
	;; [unrolled: 6-line block ×3, first 2 shown]
	s_waitcnt vmcnt(9)
	v_mul_f64 v[4:5], v[102:103], v[50:51]
	v_mul_f64 v[6:7], v[100:101], v[50:51]
	v_fmac_f64_e32 v[4:5], v[100:101], v[48:49]
	v_fma_f64 v[6:7], v[102:103], v[48:49], -v[6:7]
	ds_write_b128 v17, v[0:3] offset:480
	ds_write_b128 v17, v[4:7] offset:528
	s_waitcnt vmcnt(7)
	v_mul_f64 v[0:1], v[90:91], v[114:115]
	v_mul_f64 v[2:3], v[88:89], v[114:115]
	v_fmac_f64_e32 v[0:1], v[88:89], v[112:113]
	v_fma_f64 v[2:3], v[90:91], v[112:113], -v[2:3]
	ds_write_b128 v17, v[0:3] offset:576
	s_waitcnt vmcnt(6)
	v_mul_f64 v[0:1], v[110:111], v[118:119]
	v_mul_f64 v[2:3], v[108:109], v[118:119]
	v_fmac_f64_e32 v[0:1], v[108:109], v[116:117]
	v_fma_f64 v[2:3], v[110:111], v[116:117], -v[2:3]
	;; [unrolled: 6-line block ×5, first 2 shown]
	ds_write_b128 v17, v[0:3] offset:768
.LBB0_3:
	s_or_b64 exec, exec, s[2:3]
	s_load_dwordx2 s[2:3], s[0:1], 0x20
	s_load_dwordx2 s[4:5], s[0:1], 0x8
	s_waitcnt lgkmcnt(0)
	s_barrier
	s_waitcnt lgkmcnt(0)
                                        ; implicit-def: $vgpr106_vgpr107
                                        ; implicit-def: $vgpr102_vgpr103
                                        ; implicit-def: $vgpr98_vgpr99
                                        ; implicit-def: $vgpr94_vgpr95
                                        ; implicit-def: $vgpr90_vgpr91
                                        ; implicit-def: $vgpr86_vgpr87
                                        ; implicit-def: $vgpr82_vgpr83
                                        ; implicit-def: $vgpr78_vgpr79
                                        ; implicit-def: $vgpr74_vgpr75
                                        ; implicit-def: $vgpr70_vgpr71
                                        ; implicit-def: $vgpr66_vgpr67
                                        ; implicit-def: $vgpr58_vgpr59
                                        ; implicit-def: $vgpr62_vgpr63
                                        ; implicit-def: $vgpr108_vgpr109
                                        ; implicit-def: $vgpr112_vgpr113
                                        ; implicit-def: $vgpr116_vgpr117
                                        ; implicit-def: $vgpr120_vgpr121
	s_and_saveexec_b64 s[0:1], vcc
	s_cbranch_execz .LBB0_5
; %bb.4:
	v_lshl_add_u32 v0, v231, 4, v226
	ds_read_b128 v[60:63], v0
	ds_read_b128 v[56:59], v0 offset:48
	ds_read_b128 v[64:67], v0 offset:96
	;; [unrolled: 1-line block ×16, first 2 shown]
.LBB0_5:
	s_or_b64 exec, exec, s[0:1]
	s_mov_b32 s48, 0x5d8e7cdc
	s_waitcnt lgkmcnt(0)
	v_add_f64 v[2:3], v[58:59], -v[122:123]
	s_mov_b32 s0, 0x370991
	s_mov_b32 s49, 0xbfd71e95
	;; [unrolled: 1-line block ×3, first 2 shown]
	v_add_f64 v[134:135], v[56:57], v[120:121]
	v_add_f64 v[0:1], v[56:57], -v[120:121]
	s_mov_b32 s1, 0x3fedd6d0
	v_mul_f64 v[124:125], v[2:3], s[48:49]
	s_mov_b32 s10, 0x75d4884
	s_mov_b32 s47, 0xbfe58eea
	v_add_f64 v[152:153], v[66:67], -v[118:119]
	v_add_f64 v[136:137], v[58:59], v[122:123]
	v_mul_f64 v[126:127], v[0:1], s[48:49]
	v_fma_f64 v[4:5], s[0:1], v[134:135], v[124:125]
	s_mov_b32 s11, 0x3fe7a5f6
	v_add_f64 v[146:147], v[64:65], v[116:117]
	v_add_f64 v[150:151], v[64:65], -v[116:117]
	v_mul_f64 v[138:139], v[152:153], s[46:47]
	v_add_f64 v[4:5], v[60:61], v[4:5]
	v_fma_f64 v[6:7], v[136:137], s[0:1], -v[126:127]
	s_mov_b32 s34, 0xeb564b22
	v_add_f64 v[148:149], v[66:67], v[118:119]
	v_mul_f64 v[140:141], v[150:151], s[46:47]
	v_fma_f64 v[142:143], s[10:11], v[146:147], v[138:139]
	v_add_f64 v[6:7], v[62:63], v[6:7]
	v_mul_f64 v[130:131], v[2:3], s[46:47]
	s_mov_b32 s35, 0xbfefdd0d
	s_mov_b32 s20, 0x3259b75e
	v_add_f64 v[4:5], v[142:143], v[4:5]
	v_fma_f64 v[142:143], v[148:149], s[10:11], -v[140:141]
	v_mul_f64 v[132:133], v[0:1], s[46:47]
	v_fma_f64 v[8:9], s[10:11], v[134:135], v[130:131]
	s_mov_b32 s36, 0x7c9e640b
	s_mov_b32 s21, 0x3fb79ee6
	v_add_f64 v[6:7], v[142:143], v[6:7]
	v_mul_f64 v[142:143], v[152:153], s[34:35]
	v_add_f64 v[8:9], v[60:61], v[8:9]
	v_fma_f64 v[10:11], v[136:137], s[10:11], -v[132:133]
	s_mov_b32 s37, 0xbfeca52d
	s_mov_b32 s6, 0x2b2883cd
	;; [unrolled: 1-line block ×3, first 2 shown]
	v_mul_f64 v[144:145], v[150:151], s[34:35]
	v_fma_f64 v[154:155], s[20:21], v[146:147], v[142:143]
	v_add_f64 v[10:11], v[62:63], v[10:11]
	v_mul_f64 v[12:13], v[2:3], s[36:37]
	s_mov_b32 s7, 0x3fdc86fa
	s_mov_b32 s17, 0xbfe9895b
	;; [unrolled: 1-line block ×3, first 2 shown]
	v_add_f64 v[8:9], v[154:155], v[8:9]
	v_fma_f64 v[154:155], v[148:149], s[20:21], -v[144:145]
	v_fma_f64 v[14:15], v[134:135], s[6:7], -v[12:13]
	s_mov_b32 s19, 0xbfe348c8
	v_add_f64 v[10:11], v[154:155], v[10:11]
	v_mul_f64 v[154:155], v[152:153], s[16:17]
	v_add_f64 v[14:15], v[60:61], v[14:15]
	v_mul_f64 v[16:17], v[0:1], s[36:37]
	v_fmac_f64_e32 v[12:13], s[6:7], v[134:135]
	v_fma_f64 v[156:157], v[146:147], s[18:19], -v[154:155]
	v_fma_f64 v[18:19], s[6:7], v[136:137], v[16:17]
	v_add_f64 v[12:13], v[60:61], v[12:13]
	v_fma_f64 v[16:17], v[136:137], s[6:7], -v[16:17]
	s_mov_b32 s28, 0xacd6c6b4
	v_add_f64 v[14:15], v[156:157], v[14:15]
	v_mul_f64 v[156:157], v[150:151], s[16:17]
	v_fmac_f64_e32 v[154:155], s[18:19], v[146:147]
	v_add_f64 v[16:17], v[62:63], v[16:17]
	v_mul_f64 v[20:21], v[2:3], s[34:35]
	s_mov_b32 s29, 0xbfc7851a
	s_mov_b32 s30, 0x7faef3
	v_add_f64 v[12:13], v[154:155], v[12:13]
	v_fma_f64 v[154:155], v[148:149], s[18:19], -v[156:157]
	v_fma_f64 v[22:23], v[134:135], s[20:21], -v[20:21]
	s_mov_b32 s31, 0xbfef7484
	v_add_f64 v[16:17], v[154:155], v[16:17]
	v_mul_f64 v[154:155], v[152:153], s[28:29]
	v_add_f64 v[22:23], v[60:61], v[22:23]
	v_mul_f64 v[24:25], v[0:1], s[34:35]
	v_fmac_f64_e32 v[20:21], s[20:21], v[134:135]
	s_mov_b32 s26, 0x923c349f
	v_fma_f64 v[158:159], s[18:19], v[148:149], v[156:157]
	v_fma_f64 v[156:157], v[146:147], s[30:31], -v[154:155]
	v_fma_f64 v[26:27], s[20:21], v[136:137], v[24:25]
	v_add_f64 v[20:21], v[60:61], v[20:21]
	v_fma_f64 v[24:25], v[136:137], s[20:21], -v[24:25]
	s_mov_b32 s27, 0xbfeec746
	s_mov_b32 s14, 0xc61f0d01
	;; [unrolled: 1-line block ×3, first 2 shown]
	v_add_f64 v[22:23], v[156:157], v[22:23]
	v_mul_f64 v[156:157], v[150:151], s[28:29]
	v_fmac_f64_e32 v[154:155], s[30:31], v[146:147]
	v_add_f64 v[24:25], v[62:63], v[24:25]
	v_mul_f64 v[28:29], v[2:3], s[26:27]
	s_mov_b32 s15, 0xbfd183b1
	s_mov_b32 s23, 0xbfe0d888
	s_mov_b32 s24, 0x910ea3b9
	v_add_f64 v[20:21], v[154:155], v[20:21]
	v_fma_f64 v[154:155], v[148:149], s[30:31], -v[156:157]
	s_mov_b32 s43, 0x3fe0d888
	s_mov_b32 s42, s22
	v_add_f64 v[18:19], v[62:63], v[18:19]
	v_fma_f64 v[30:31], v[134:135], s[14:15], -v[28:29]
	s_mov_b32 s25, 0xbfeb34fa
	v_add_f64 v[24:25], v[154:155], v[24:25]
	v_mul_f64 v[154:155], v[152:153], s[42:43]
	v_add_f64 v[30:31], v[60:61], v[30:31]
	v_mul_f64 v[32:33], v[0:1], s[26:27]
	v_fmac_f64_e32 v[28:29], s[14:15], v[134:135]
	v_add_f64 v[18:19], v[158:159], v[18:19]
	v_fma_f64 v[158:159], s[30:31], v[148:149], v[156:157]
	v_fma_f64 v[156:157], v[146:147], s[24:25], -v[154:155]
	v_fma_f64 v[34:35], s[14:15], v[136:137], v[32:33]
	v_add_f64 v[28:29], v[60:61], v[28:29]
	v_fma_f64 v[32:33], v[136:137], s[14:15], -v[32:33]
	v_add_f64 v[30:31], v[156:157], v[30:31]
	v_mul_f64 v[156:157], v[150:151], s[42:43]
	v_fmac_f64_e32 v[154:155], s[24:25], v[146:147]
	v_add_f64 v[32:33], v[62:63], v[32:33]
	v_mul_f64 v[36:37], v[2:3], s[16:17]
	v_add_f64 v[28:29], v[154:155], v[28:29]
	v_fma_f64 v[154:155], v[148:149], s[24:25], -v[156:157]
	s_mov_b32 s39, 0x3feec746
	s_mov_b32 s38, s26
	v_add_f64 v[26:27], v[62:63], v[26:27]
	v_fma_f64 v[38:39], v[134:135], s[18:19], -v[36:37]
	v_add_f64 v[32:33], v[154:155], v[32:33]
	v_mul_f64 v[154:155], v[152:153], s[38:39]
	v_add_f64 v[38:39], v[60:61], v[38:39]
	v_mul_f64 v[40:41], v[0:1], s[16:17]
	v_fmac_f64_e32 v[36:37], s[18:19], v[134:135]
	v_add_f64 v[26:27], v[158:159], v[26:27]
	v_fma_f64 v[158:159], s[24:25], v[148:149], v[156:157]
	v_fma_f64 v[156:157], v[146:147], s[14:15], -v[154:155]
	v_fma_f64 v[42:43], s[18:19], v[136:137], v[40:41]
	v_add_f64 v[36:37], v[60:61], v[36:37]
	v_fma_f64 v[40:41], v[136:137], s[18:19], -v[40:41]
	v_add_f64 v[38:39], v[156:157], v[38:39]
	v_mul_f64 v[156:157], v[150:151], s[38:39]
	v_fmac_f64_e32 v[154:155], s[14:15], v[146:147]
	v_add_f64 v[40:41], v[62:63], v[40:41]
	v_mul_f64 v[44:45], v[2:3], s[22:23]
	v_add_f64 v[36:37], v[154:155], v[36:37]
	v_fma_f64 v[154:155], v[148:149], s[14:15], -v[156:157]
	s_mov_b32 s41, 0x3feca52d
	s_mov_b32 s40, s36
	v_add_f64 v[34:35], v[62:63], v[34:35]
	v_fma_f64 v[46:47], v[134:135], s[24:25], -v[44:45]
	v_add_f64 v[40:41], v[154:155], v[40:41]
	v_mul_f64 v[154:155], v[152:153], s[40:41]
	v_add_f64 v[46:47], v[60:61], v[46:47]
	v_mul_f64 v[48:49], v[0:1], s[22:23]
	v_fmac_f64_e32 v[44:45], s[24:25], v[134:135]
	v_add_f64 v[34:35], v[158:159], v[34:35]
	v_fma_f64 v[158:159], s[14:15], v[148:149], v[156:157]
	v_fma_f64 v[156:157], v[146:147], s[6:7], -v[154:155]
	v_fma_f64 v[50:51], s[24:25], v[136:137], v[48:49]
	v_add_f64 v[44:45], v[60:61], v[44:45]
	v_fma_f64 v[48:49], v[136:137], s[24:25], -v[48:49]
	v_mul_f64 v[2:3], v[2:3], s[28:29]
	v_add_f64 v[46:47], v[156:157], v[46:47]
	v_mul_f64 v[156:157], v[150:151], s[40:41]
	v_fmac_f64_e32 v[154:155], s[6:7], v[146:147]
	s_mov_b32 s45, 0x3fd71e95
	s_mov_b32 s44, s48
	v_add_f64 v[48:49], v[62:63], v[48:49]
	v_fma_f64 v[52:53], v[134:135], s[30:31], -v[2:3]
	v_mul_f64 v[0:1], v[0:1], s[28:29]
	v_add_f64 v[44:45], v[154:155], v[44:45]
	v_fma_f64 v[154:155], v[148:149], s[6:7], -v[156:157]
	v_mul_f64 v[152:153], v[152:153], s[44:45]
	v_add_f64 v[42:43], v[62:63], v[42:43]
	v_add_f64 v[52:53], v[60:61], v[52:53]
	v_fma_f64 v[54:55], s[30:31], v[136:137], v[0:1]
	v_fma_f64 v[0:1], v[136:137], s[30:31], -v[0:1]
	v_add_f64 v[48:49], v[154:155], v[48:49]
	v_fma_f64 v[154:155], v[146:147], s[0:1], -v[152:153]
	v_mul_f64 v[150:151], v[150:151], s[44:45]
	v_add_f64 v[50:51], v[62:63], v[50:51]
	v_fmac_f64_e32 v[2:3], s[30:31], v[134:135]
	v_add_f64 v[0:1], v[62:63], v[0:1]
	v_add_f64 v[42:43], v[158:159], v[42:43]
	v_fma_f64 v[158:159], s[6:7], v[148:149], v[156:157]
	v_add_f64 v[52:53], v[154:155], v[52:53]
	v_fma_f64 v[154:155], s[0:1], v[148:149], v[150:151]
	v_fma_f64 v[150:151], v[148:149], s[0:1], -v[150:151]
	v_add_f64 v[164:165], v[70:71], -v[114:115]
	v_add_f64 v[54:55], v[62:63], v[54:55]
	v_add_f64 v[2:3], v[60:61], v[2:3]
	;; [unrolled: 1-line block ×3, first 2 shown]
	v_fmac_f64_e32 v[152:153], s[0:1], v[146:147]
	v_add_f64 v[0:1], v[150:151], v[0:1]
	v_add_f64 v[158:159], v[68:69], v[112:113]
	v_add_f64 v[162:163], v[68:69], -v[112:113]
	v_mul_f64 v[150:151], v[164:165], s[36:37]
	v_add_f64 v[54:55], v[154:155], v[54:55]
	v_add_f64 v[2:3], v[152:153], v[2:3]
	;; [unrolled: 1-line block ×3, first 2 shown]
	v_mul_f64 v[152:153], v[162:163], s[36:37]
	v_fma_f64 v[154:155], s[6:7], v[158:159], v[150:151]
	v_add_f64 v[4:5], v[154:155], v[4:5]
	v_fma_f64 v[154:155], v[160:161], s[6:7], -v[152:153]
	v_add_f64 v[6:7], v[154:155], v[6:7]
	v_mul_f64 v[154:155], v[164:165], s[16:17]
	v_mul_f64 v[156:157], v[162:163], s[16:17]
	v_fma_f64 v[166:167], s[18:19], v[158:159], v[154:155]
	v_add_f64 v[8:9], v[166:167], v[8:9]
	v_fma_f64 v[166:167], v[160:161], s[18:19], -v[156:157]
	s_mov_b32 s57, 0x3fc7851a
	s_mov_b32 s56, s28
	v_add_f64 v[10:11], v[166:167], v[10:11]
	v_mul_f64 v[166:167], v[164:165], s[56:57]
	v_fma_f64 v[168:169], v[158:159], s[30:31], -v[166:167]
	v_add_f64 v[14:15], v[168:169], v[14:15]
	v_mul_f64 v[168:169], v[162:163], s[56:57]
	v_fmac_f64_e32 v[166:167], s[30:31], v[158:159]
	v_add_f64 v[12:13], v[166:167], v[12:13]
	v_fma_f64 v[166:167], v[160:161], s[30:31], -v[168:169]
	v_add_f64 v[16:17], v[166:167], v[16:17]
	v_mul_f64 v[166:167], v[164:165], s[38:39]
	v_fma_f64 v[170:171], s[30:31], v[160:161], v[168:169]
	v_fma_f64 v[168:169], v[158:159], s[14:15], -v[166:167]
	v_add_f64 v[22:23], v[168:169], v[22:23]
	v_mul_f64 v[168:169], v[162:163], s[38:39]
	v_fmac_f64_e32 v[166:167], s[14:15], v[158:159]
	v_add_f64 v[20:21], v[166:167], v[20:21]
	v_fma_f64 v[166:167], v[160:161], s[14:15], -v[168:169]
	s_mov_b32 s51, 0x3fe58eea
	s_mov_b32 s50, s46
	v_add_f64 v[24:25], v[166:167], v[24:25]
	v_mul_f64 v[166:167], v[164:165], s[50:51]
	v_add_f64 v[18:19], v[170:171], v[18:19]
	v_fma_f64 v[170:171], s[14:15], v[160:161], v[168:169]
	v_fma_f64 v[168:169], v[158:159], s[10:11], -v[166:167]
	v_add_f64 v[30:31], v[168:169], v[30:31]
	v_mul_f64 v[168:169], v[162:163], s[50:51]
	v_fmac_f64_e32 v[166:167], s[10:11], v[158:159]
	v_add_f64 v[28:29], v[166:167], v[28:29]
	v_fma_f64 v[166:167], v[160:161], s[10:11], -v[168:169]
	v_add_f64 v[32:33], v[166:167], v[32:33]
	v_mul_f64 v[166:167], v[164:165], s[48:49]
	v_add_f64 v[26:27], v[170:171], v[26:27]
	v_fma_f64 v[170:171], s[10:11], v[160:161], v[168:169]
	v_fma_f64 v[168:169], v[158:159], s[0:1], -v[166:167]
	v_add_f64 v[38:39], v[168:169], v[38:39]
	v_mul_f64 v[168:169], v[162:163], s[48:49]
	v_fmac_f64_e32 v[166:167], s[0:1], v[158:159]
	v_add_f64 v[36:37], v[166:167], v[36:37]
	v_fma_f64 v[166:167], v[160:161], s[0:1], -v[168:169]
	;; [unrolled: 10-line block ×3, first 2 shown]
	v_mul_f64 v[164:165], v[164:165], s[22:23]
	v_add_f64 v[48:49], v[166:167], v[48:49]
	v_fma_f64 v[166:167], v[158:159], s[24:25], -v[164:165]
	v_mul_f64 v[162:163], v[162:163], s[22:23]
	v_add_f64 v[42:43], v[170:171], v[42:43]
	v_fma_f64 v[170:171], s[20:21], v[160:161], v[168:169]
	v_add_f64 v[52:53], v[166:167], v[52:53]
	v_fma_f64 v[166:167], s[24:25], v[160:161], v[162:163]
	v_fma_f64 v[162:163], v[160:161], s[24:25], -v[162:163]
	v_add_f64 v[176:177], v[74:75], -v[110:111]
	v_add_f64 v[50:51], v[170:171], v[50:51]
	v_fmac_f64_e32 v[164:165], s[24:25], v[158:159]
	v_add_f64 v[0:1], v[162:163], v[0:1]
	v_add_f64 v[170:171], v[72:73], v[108:109]
	v_add_f64 v[174:175], v[72:73], -v[108:109]
	v_mul_f64 v[162:163], v[176:177], s[34:35]
	v_add_f64 v[54:55], v[166:167], v[54:55]
	v_add_f64 v[2:3], v[164:165], v[2:3]
	;; [unrolled: 1-line block ×3, first 2 shown]
	v_mul_f64 v[164:165], v[174:175], s[34:35]
	v_fma_f64 v[166:167], s[20:21], v[170:171], v[162:163]
	v_add_f64 v[4:5], v[166:167], v[4:5]
	v_fma_f64 v[166:167], v[172:173], s[20:21], -v[164:165]
	v_add_f64 v[6:7], v[166:167], v[6:7]
	v_mul_f64 v[166:167], v[176:177], s[28:29]
	v_mul_f64 v[168:169], v[174:175], s[28:29]
	v_fma_f64 v[178:179], s[30:31], v[170:171], v[166:167]
	v_add_f64 v[8:9], v[178:179], v[8:9]
	v_fma_f64 v[178:179], v[172:173], s[30:31], -v[168:169]
	v_add_f64 v[10:11], v[178:179], v[10:11]
	v_mul_f64 v[178:179], v[176:177], s[38:39]
	v_fma_f64 v[180:181], v[170:171], s[14:15], -v[178:179]
	v_add_f64 v[14:15], v[180:181], v[14:15]
	v_mul_f64 v[180:181], v[174:175], s[38:39]
	v_fmac_f64_e32 v[178:179], s[14:15], v[170:171]
	v_add_f64 v[12:13], v[178:179], v[12:13]
	v_fma_f64 v[178:179], v[172:173], s[14:15], -v[180:181]
	v_add_f64 v[16:17], v[178:179], v[16:17]
	v_mul_f64 v[178:179], v[176:177], s[44:45]
	v_fma_f64 v[182:183], s[14:15], v[172:173], v[180:181]
	v_fma_f64 v[180:181], v[170:171], s[0:1], -v[178:179]
	v_add_f64 v[22:23], v[180:181], v[22:23]
	v_mul_f64 v[180:181], v[174:175], s[44:45]
	v_fmac_f64_e32 v[178:179], s[0:1], v[170:171]
	v_add_f64 v[20:21], v[178:179], v[20:21]
	v_fma_f64 v[178:179], v[172:173], s[0:1], -v[180:181]
	v_add_f64 v[24:25], v[178:179], v[24:25]
	v_mul_f64 v[178:179], v[176:177], s[36:37]
	v_add_f64 v[18:19], v[182:183], v[18:19]
	v_fma_f64 v[182:183], s[0:1], v[172:173], v[180:181]
	v_fma_f64 v[180:181], v[170:171], s[6:7], -v[178:179]
	v_add_f64 v[30:31], v[180:181], v[30:31]
	v_mul_f64 v[180:181], v[174:175], s[36:37]
	v_fmac_f64_e32 v[178:179], s[6:7], v[170:171]
	v_add_f64 v[28:29], v[178:179], v[28:29]
	v_fma_f64 v[178:179], v[172:173], s[6:7], -v[180:181]
	v_add_f64 v[32:33], v[178:179], v[32:33]
	v_mul_f64 v[178:179], v[176:177], s[22:23]
	v_add_f64 v[26:27], v[182:183], v[26:27]
	v_fma_f64 v[182:183], s[6:7], v[172:173], v[180:181]
	v_fma_f64 v[180:181], v[170:171], s[24:25], -v[178:179]
	v_add_f64 v[38:39], v[180:181], v[38:39]
	v_mul_f64 v[180:181], v[174:175], s[22:23]
	v_fmac_f64_e32 v[178:179], s[24:25], v[170:171]
	v_add_f64 v[36:37], v[178:179], v[36:37]
	v_fma_f64 v[178:179], v[172:173], s[24:25], -v[180:181]
	s_mov_b32 s55, 0x3fe9895b
	s_mov_b32 s54, s16
	v_add_f64 v[40:41], v[178:179], v[40:41]
	v_mul_f64 v[178:179], v[176:177], s[54:55]
	v_add_f64 v[34:35], v[182:183], v[34:35]
	v_fma_f64 v[182:183], s[24:25], v[172:173], v[180:181]
	v_fma_f64 v[180:181], v[170:171], s[18:19], -v[178:179]
	v_add_f64 v[46:47], v[180:181], v[46:47]
	v_mul_f64 v[180:181], v[174:175], s[54:55]
	v_fmac_f64_e32 v[178:179], s[18:19], v[170:171]
	v_add_f64 v[44:45], v[178:179], v[44:45]
	v_fma_f64 v[178:179], v[172:173], s[18:19], -v[180:181]
	v_mul_f64 v[176:177], v[176:177], s[50:51]
	v_add_f64 v[48:49], v[178:179], v[48:49]
	v_fma_f64 v[178:179], v[170:171], s[10:11], -v[176:177]
	v_mul_f64 v[174:175], v[174:175], s[50:51]
	v_add_f64 v[52:53], v[178:179], v[52:53]
	v_fma_f64 v[178:179], s[10:11], v[172:173], v[174:175]
	v_fma_f64 v[174:175], v[172:173], s[10:11], -v[174:175]
	v_add_f64 v[186:187], v[104:105], v[76:77]
	v_add_f64 v[42:43], v[182:183], v[42:43]
	v_fma_f64 v[182:183], s[18:19], v[172:173], v[180:181]
	v_fmac_f64_e32 v[176:177], s[10:11], v[170:171]
	v_add_f64 v[0:1], v[174:175], v[0:1]
	v_add_f64 v[188:189], v[76:77], -v[104:105]
	v_add_f64 v[184:185], v[78:79], -v[106:107]
	v_mul_f64 v[174:175], v[186:187], s[14:15]
	v_add_f64 v[50:51], v[182:183], v[50:51]
	v_add_f64 v[54:55], v[178:179], v[54:55]
	;; [unrolled: 1-line block ×4, first 2 shown]
	v_mul_f64 v[176:177], v[188:189], s[26:27]
	v_fma_f64 v[178:179], s[26:27], v[184:185], v[174:175]
	v_add_f64 v[4:5], v[178:179], v[4:5]
	v_fma_f64 v[178:179], v[182:183], s[14:15], -v[176:177]
	v_add_f64 v[6:7], v[178:179], v[6:7]
	v_mul_f64 v[178:179], v[186:187], s[24:25]
	v_mul_f64 v[180:181], v[188:189], s[42:43]
	v_fma_f64 v[190:191], s[42:43], v[184:185], v[178:179]
	v_add_f64 v[8:9], v[190:191], v[8:9]
	v_fma_f64 v[190:191], v[182:183], s[24:25], -v[180:181]
	v_add_f64 v[10:11], v[190:191], v[10:11]
	v_mul_f64 v[190:191], v[186:187], s[10:11]
	v_fma_f64 v[192:193], s[46:47], v[184:185], v[190:191]
	v_add_f64 v[14:15], v[192:193], v[14:15]
	v_mul_f64 v[192:193], v[188:189], s[50:51]
	v_fmac_f64_e32 v[190:191], s[50:51], v[184:185]
	v_add_f64 v[12:13], v[190:191], v[12:13]
	v_fma_f64 v[190:191], v[182:183], s[10:11], -v[192:193]
	v_add_f64 v[16:17], v[190:191], v[16:17]
	v_mul_f64 v[190:191], v[186:187], s[6:7]
	v_fma_f64 v[194:195], s[10:11], v[182:183], v[192:193]
	v_fma_f64 v[192:193], s[40:41], v[184:185], v[190:191]
	v_add_f64 v[22:23], v[192:193], v[22:23]
	v_mul_f64 v[192:193], v[188:189], s[36:37]
	v_fmac_f64_e32 v[190:191], s[36:37], v[184:185]
	v_add_f64 v[20:21], v[190:191], v[20:21]
	v_fma_f64 v[190:191], v[182:183], s[6:7], -v[192:193]
	v_add_f64 v[24:25], v[190:191], v[24:25]
	v_mul_f64 v[190:191], v[186:187], s[30:31]
	v_add_f64 v[18:19], v[194:195], v[18:19]
	v_fma_f64 v[194:195], s[6:7], v[182:183], v[192:193]
	v_fma_f64 v[192:193], s[56:57], v[184:185], v[190:191]
	v_add_f64 v[30:31], v[192:193], v[30:31]
	v_mul_f64 v[192:193], v[188:189], s[28:29]
	v_fmac_f64_e32 v[190:191], s[28:29], v[184:185]
	v_add_f64 v[28:29], v[190:191], v[28:29]
	v_fma_f64 v[190:191], v[182:183], s[30:31], -v[192:193]
	v_add_f64 v[32:33], v[190:191], v[32:33]
	v_mul_f64 v[190:191], v[186:187], s[20:21]
	v_add_f64 v[26:27], v[194:195], v[26:27]
	v_fma_f64 v[194:195], s[30:31], v[182:183], v[192:193]
	v_fma_f64 v[192:193], s[34:35], v[184:185], v[190:191]
	s_mov_b32 s53, 0x3fefdd0d
	s_mov_b32 s52, s34
	v_add_f64 v[38:39], v[192:193], v[38:39]
	v_mul_f64 v[192:193], v[188:189], s[52:53]
	v_fmac_f64_e32 v[190:191], s[52:53], v[184:185]
	v_add_f64 v[36:37], v[190:191], v[36:37]
	v_fma_f64 v[190:191], v[182:183], s[20:21], -v[192:193]
	v_add_f64 v[40:41], v[190:191], v[40:41]
	v_mul_f64 v[190:191], v[186:187], s[0:1]
	v_add_f64 v[34:35], v[194:195], v[34:35]
	v_fma_f64 v[194:195], s[20:21], v[182:183], v[192:193]
	v_fma_f64 v[192:193], s[44:45], v[184:185], v[190:191]
	v_add_f64 v[46:47], v[192:193], v[46:47]
	v_mul_f64 v[192:193], v[188:189], s[48:49]
	v_fmac_f64_e32 v[190:191], s[48:49], v[184:185]
	v_add_f64 v[44:45], v[190:191], v[44:45]
	v_fma_f64 v[190:191], v[182:183], s[0:1], -v[192:193]
	v_mul_f64 v[186:187], v[186:187], s[18:19]
	v_add_f64 v[48:49], v[190:191], v[48:49]
	v_fma_f64 v[190:191], s[54:55], v[184:185], v[186:187]
	v_mul_f64 v[188:189], v[188:189], s[16:17]
	v_fmac_f64_e32 v[186:187], s[16:17], v[184:185]
	v_add_f64 v[42:43], v[194:195], v[42:43]
	v_fma_f64 v[194:195], s[0:1], v[182:183], v[192:193]
	v_add_f64 v[2:3], v[186:187], v[2:3]
	v_fma_f64 v[186:187], v[182:183], s[18:19], -v[188:189]
	v_add_f64 v[198:199], v[100:101], v[80:81]
	v_add_f64 v[50:51], v[194:195], v[50:51]
	;; [unrolled: 1-line block ×3, first 2 shown]
	v_fma_f64 v[190:191], s[18:19], v[182:183], v[188:189]
	v_add_f64 v[0:1], v[186:187], v[0:1]
	v_add_f64 v[200:201], v[80:81], -v[100:101]
	v_add_f64 v[194:195], v[82:83], -v[102:103]
	v_mul_f64 v[186:187], v[198:199], s[18:19]
	v_add_f64 v[54:55], v[190:191], v[54:55]
	v_add_f64 v[192:193], v[102:103], v[82:83]
	v_mul_f64 v[188:189], v[200:201], s[16:17]
	v_fma_f64 v[190:191], s[16:17], v[194:195], v[186:187]
	v_add_f64 v[4:5], v[190:191], v[4:5]
	v_fma_f64 v[190:191], v[192:193], s[18:19], -v[188:189]
	v_add_f64 v[6:7], v[190:191], v[6:7]
	v_mul_f64 v[190:191], v[198:199], s[14:15]
	v_mul_f64 v[196:197], v[200:201], s[38:39]
	v_fma_f64 v[202:203], s[38:39], v[194:195], v[190:191]
	v_add_f64 v[8:9], v[202:203], v[8:9]
	v_fma_f64 v[202:203], v[192:193], s[14:15], -v[196:197]
	v_add_f64 v[10:11], v[202:203], v[10:11]
	v_mul_f64 v[202:203], v[198:199], s[0:1]
	v_fma_f64 v[204:205], s[44:45], v[194:195], v[202:203]
	v_add_f64 v[14:15], v[204:205], v[14:15]
	v_mul_f64 v[204:205], v[200:201], s[48:49]
	v_fmac_f64_e32 v[202:203], s[48:49], v[194:195]
	v_add_f64 v[12:13], v[202:203], v[12:13]
	v_fma_f64 v[202:203], v[192:193], s[0:1], -v[204:205]
	v_add_f64 v[210:211], v[202:203], v[16:17]
	v_mul_f64 v[16:17], v[198:199], s[24:25]
	v_fma_f64 v[202:203], s[42:43], v[194:195], v[16:17]
	v_add_f64 v[22:23], v[202:203], v[22:23]
	v_mul_f64 v[202:203], v[200:201], s[22:23]
	v_fmac_f64_e32 v[16:17], s[22:23], v[194:195]
	;; [unrolled: 8-line block ×3, first 2 shown]
	v_add_f64 v[28:29], v[16:17], v[28:29]
	v_fma_f64 v[16:17], v[192:193], s[20:21], -v[24:25]
	v_add_f64 v[214:215], v[16:17], v[32:33]
	v_mul_f64 v[16:17], v[198:199], s[10:11]
	v_fma_f64 v[206:207], s[0:1], v[192:193], v[204:205]
	v_fma_f64 v[204:205], s[24:25], v[192:193], v[202:203]
	;; [unrolled: 1-line block ×4, first 2 shown]
	v_add_f64 v[38:39], v[24:25], v[38:39]
	v_mul_f64 v[24:25], v[200:201], s[46:47]
	v_fmac_f64_e32 v[16:17], s[46:47], v[194:195]
	v_add_f64 v[36:37], v[16:17], v[36:37]
	v_fma_f64 v[16:17], v[192:193], s[10:11], -v[24:25]
	v_add_f64 v[40:41], v[16:17], v[40:41]
	v_mul_f64 v[16:17], v[198:199], s[30:31]
	v_fma_f64 v[32:33], s[10:11], v[192:193], v[24:25]
	v_fma_f64 v[24:25], s[56:57], v[194:195], v[16:17]
	v_add_f64 v[46:47], v[24:25], v[46:47]
	v_mul_f64 v[24:25], v[200:201], s[28:29]
	v_fmac_f64_e32 v[16:17], s[28:29], v[194:195]
	v_add_f64 v[44:45], v[16:17], v[44:45]
	v_fma_f64 v[16:17], v[192:193], s[30:31], -v[24:25]
	v_add_f64 v[48:49], v[16:17], v[48:49]
	v_mul_f64 v[16:17], v[198:199], s[6:7]
	v_add_f64 v[42:43], v[32:33], v[42:43]
	v_fma_f64 v[32:33], s[30:31], v[192:193], v[24:25]
	v_fma_f64 v[24:25], s[36:37], v[194:195], v[16:17]
	v_add_f64 v[52:53], v[24:25], v[52:53]
	v_mul_f64 v[24:25], v[200:201], s[40:41]
	v_fmac_f64_e32 v[16:17], s[40:41], v[194:195]
	v_add_f64 v[216:217], v[96:97], v[84:85]
	v_add_f64 v[18:19], v[206:207], v[18:19]
	;; [unrolled: 1-line block ×3, first 2 shown]
	v_fma_f64 v[16:17], v[192:193], s[6:7], -v[24:25]
	v_add_f64 v[218:219], v[84:85], -v[96:97]
	v_add_f64 v[206:207], v[86:87], -v[98:99]
	v_mul_f64 v[198:199], v[216:217], s[24:25]
	v_add_f64 v[26:27], v[204:205], v[26:27]
	v_add_f64 v[0:1], v[16:17], v[0:1]
	;; [unrolled: 1-line block ×3, first 2 shown]
	v_mul_f64 v[200:201], v[218:219], s[22:23]
	v_fma_f64 v[16:17], s[22:23], v[206:207], v[198:199]
	v_add_f64 v[34:35], v[202:203], v[34:35]
	v_add_f64 v[4:5], v[16:17], v[4:5]
	v_fma_f64 v[16:17], v[204:205], s[24:25], -v[200:201]
	v_mul_f64 v[202:203], v[216:217], s[6:7]
	v_add_f64 v[6:7], v[16:17], v[6:7]
	v_mul_f64 v[208:209], v[218:219], s[40:41]
	v_fma_f64 v[16:17], s[40:41], v[206:207], v[202:203]
	v_add_f64 v[8:9], v[16:17], v[8:9]
	v_fma_f64 v[16:17], v[204:205], s[6:7], -v[208:209]
	v_add_f64 v[10:11], v[16:17], v[10:11]
	v_mul_f64 v[16:17], v[216:217], s[20:21]
	v_add_f64 v[50:51], v[32:33], v[50:51]
	v_fma_f64 v[32:33], s[6:7], v[192:193], v[24:25]
	v_fma_f64 v[24:25], s[52:53], v[206:207], v[16:17]
	v_add_f64 v[234:235], v[24:25], v[14:15]
	v_mul_f64 v[14:15], v[218:219], s[34:35]
	v_fma_f64 v[24:25], s[20:21], v[204:205], v[14:15]
	v_fmac_f64_e32 v[16:17], s[34:35], v[206:207]
	v_add_f64 v[236:237], v[24:25], v[18:19]
	v_add_f64 v[16:17], v[16:17], v[12:13]
	v_fma_f64 v[12:13], v[204:205], s[20:21], -v[14:15]
	v_mul_f64 v[24:25], v[216:217], s[18:19]
	v_add_f64 v[18:19], v[12:13], v[210:211]
	v_fma_f64 v[12:13], s[16:17], v[206:207], v[24:25]
	v_add_f64 v[12:13], v[12:13], v[22:23]
	v_mul_f64 v[22:23], v[218:219], s[54:55]
	v_fmac_f64_e32 v[24:25], s[54:55], v[206:207]
	v_add_f64 v[54:55], v[32:33], v[54:55]
	v_fma_f64 v[14:15], s[18:19], v[204:205], v[22:23]
	v_add_f64 v[24:25], v[24:25], v[20:21]
	v_fma_f64 v[20:21], v[204:205], s[18:19], -v[22:23]
	v_mul_f64 v[32:33], v[216:217], s[0:1]
	v_add_f64 v[14:15], v[14:15], v[26:27]
	v_add_f64 v[26:27], v[20:21], v[212:213]
	v_fma_f64 v[20:21], s[44:45], v[206:207], v[32:33]
	v_add_f64 v[20:21], v[20:21], v[30:31]
	v_mul_f64 v[30:31], v[218:219], s[48:49]
	v_fmac_f64_e32 v[32:33], s[48:49], v[206:207]
	v_fma_f64 v[22:23], s[0:1], v[204:205], v[30:31]
	v_add_f64 v[32:33], v[32:33], v[28:29]
	v_fma_f64 v[28:29], v[204:205], s[0:1], -v[30:31]
	v_mul_f64 v[210:211], v[216:217], s[30:31]
	v_add_f64 v[22:23], v[22:23], v[34:35]
	v_add_f64 v[34:35], v[28:29], v[214:215]
	v_fma_f64 v[28:29], s[56:57], v[206:207], v[210:211]
	v_add_f64 v[28:29], v[28:29], v[38:39]
	v_mul_f64 v[38:39], v[218:219], s[28:29]
	v_fmac_f64_e32 v[210:211], s[28:29], v[206:207]
	v_fma_f64 v[30:31], s[30:31], v[204:205], v[38:39]
	v_add_f64 v[36:37], v[210:211], v[36:37]
	v_fma_f64 v[38:39], v[204:205], s[30:31], -v[38:39]
	v_mul_f64 v[210:211], v[216:217], s[10:11]
	v_add_f64 v[38:39], v[38:39], v[40:41]
	v_fma_f64 v[40:41], s[46:47], v[206:207], v[210:211]
	v_add_f64 v[40:41], v[40:41], v[46:47]
	v_mul_f64 v[46:47], v[218:219], s[50:51]
	v_fmac_f64_e32 v[210:211], s[50:51], v[206:207]
	v_add_f64 v[30:31], v[30:31], v[42:43]
	v_fma_f64 v[42:43], s[10:11], v[204:205], v[46:47]
	v_add_f64 v[44:45], v[210:211], v[44:45]
	v_fma_f64 v[46:47], v[204:205], s[10:11], -v[46:47]
	v_mul_f64 v[210:211], v[216:217], s[14:15]
	v_add_f64 v[46:47], v[46:47], v[48:49]
	v_fma_f64 v[48:49], s[38:39], v[206:207], v[210:211]
	v_mul_f64 v[212:213], v[218:219], s[26:27]
	v_fmac_f64_e32 v[210:211], s[26:27], v[206:207]
	v_add_f64 v[224:225], v[92:93], v[88:89]
	v_add_f64 v[42:43], v[42:43], v[50:51]
	;; [unrolled: 1-line block ×3, first 2 shown]
	v_fma_f64 v[50:51], s[14:15], v[204:205], v[212:213]
	v_add_f64 v[52:53], v[210:211], v[2:3]
	v_fma_f64 v[2:3], v[204:205], s[14:15], -v[212:213]
	v_add_f64 v[222:223], v[88:89], -v[92:93]
	v_add_f64 v[216:217], v[90:91], -v[94:95]
	v_mul_f64 v[210:211], v[224:225], s[30:31]
	v_add_f64 v[50:51], v[50:51], v[54:55]
	v_add_f64 v[54:55], v[2:3], v[0:1]
	;; [unrolled: 1-line block ×3, first 2 shown]
	v_mul_f64 v[212:213], v[222:223], s[28:29]
	v_fma_f64 v[0:1], s[28:29], v[216:217], v[210:211]
	v_add_f64 v[4:5], v[0:1], v[4:5]
	v_fma_f64 v[0:1], v[214:215], s[30:31], -v[212:213]
	v_mul_f64 v[218:219], v[224:225], s[0:1]
	v_add_f64 v[6:7], v[0:1], v[6:7]
	v_mul_f64 v[220:221], v[222:223], s[44:45]
	v_fma_f64 v[0:1], s[44:45], v[216:217], v[218:219]
	v_add_f64 v[8:9], v[0:1], v[8:9]
	v_fma_f64 v[0:1], v[214:215], s[0:1], -v[220:221]
	v_mul_f64 v[238:239], v[224:225], s[24:25]
	v_add_f64 v[10:11], v[0:1], v[10:11]
	v_fma_f64 v[0:1], s[42:43], v[216:217], v[238:239]
	v_add_f64 v[0:1], v[0:1], v[234:235]
	v_mul_f64 v[234:235], v[222:223], s[22:23]
	v_fma_f64 v[2:3], s[24:25], v[214:215], v[234:235]
	v_fma_f64 v[234:235], v[214:215], s[24:25], -v[234:235]
	v_add_f64 v[18:19], v[234:235], v[18:19]
	v_mul_f64 v[234:235], v[224:225], s[10:11]
	v_add_f64 v[2:3], v[2:3], v[236:237]
	v_fma_f64 v[236:237], s[46:47], v[216:217], v[234:235]
	v_add_f64 v[12:13], v[236:237], v[12:13]
	v_mul_f64 v[236:237], v[222:223], s[50:51]
	v_fmac_f64_e32 v[234:235], s[50:51], v[216:217]
	v_add_f64 v[24:25], v[234:235], v[24:25]
	v_fma_f64 v[234:235], v[214:215], s[10:11], -v[236:237]
	v_fmac_f64_e32 v[238:239], s[22:23], v[216:217]
	v_add_f64 v[26:27], v[234:235], v[26:27]
	v_mul_f64 v[234:235], v[224:225], s[18:19]
	v_add_f64 v[16:17], v[238:239], v[16:17]
	v_fma_f64 v[238:239], s[10:11], v[214:215], v[236:237]
	v_fma_f64 v[236:237], s[54:55], v[216:217], v[234:235]
	v_add_f64 v[20:21], v[236:237], v[20:21]
	v_mul_f64 v[236:237], v[222:223], s[16:17]
	v_fmac_f64_e32 v[234:235], s[16:17], v[216:217]
	v_add_f64 v[32:33], v[234:235], v[32:33]
	v_fma_f64 v[234:235], v[214:215], s[18:19], -v[236:237]
	v_add_f64 v[34:35], v[234:235], v[34:35]
	v_mul_f64 v[234:235], v[224:225], s[6:7]
	v_add_f64 v[14:15], v[238:239], v[14:15]
	v_fma_f64 v[238:239], s[18:19], v[214:215], v[236:237]
	v_fma_f64 v[236:237], s[36:37], v[216:217], v[234:235]
	v_add_f64 v[28:29], v[236:237], v[28:29]
	v_mul_f64 v[236:237], v[222:223], s[40:41]
	v_fmac_f64_e32 v[234:235], s[40:41], v[216:217]
	v_add_f64 v[36:37], v[234:235], v[36:37]
	v_fma_f64 v[234:235], v[214:215], s[6:7], -v[236:237]
	;; [unrolled: 10-line block ×3, first 2 shown]
	v_mul_f64 v[224:225], v[224:225], s[20:21]
	v_add_f64 v[46:47], v[234:235], v[46:47]
	v_fma_f64 v[234:235], s[34:35], v[216:217], v[224:225]
	v_mul_f64 v[222:223], v[222:223], s[52:53]
	v_add_f64 v[30:31], v[238:239], v[30:31]
	v_fma_f64 v[238:239], s[14:15], v[214:215], v[236:237]
	v_add_f64 v[48:49], v[234:235], v[48:49]
	v_fma_f64 v[234:235], s[20:21], v[214:215], v[222:223]
	v_fmac_f64_e32 v[224:225], s[52:53], v[216:217]
	v_fma_f64 v[222:223], v[214:215], s[20:21], -v[222:223]
	v_add_f64 v[42:43], v[238:239], v[42:43]
	v_add_f64 v[50:51], v[234:235], v[50:51]
	;; [unrolled: 1-line block ×4, first 2 shown]
	v_mul_lo_u16_e32 v222, 17, v230
	s_barrier
	s_and_saveexec_b64 s[34:35], vcc
	s_cbranch_execz .LBB0_7
; %bb.6:
	v_add_f64 v[58:59], v[58:59], v[62:63]
	v_add_f64 v[56:57], v[56:57], v[60:61]
	v_mul_f64 v[224:225], v[134:135], s[0:1]
	v_mul_f64 v[134:135], v[134:135], s[10:11]
	v_add_f64 v[58:59], v[66:67], v[58:59]
	v_add_f64 v[56:57], v[64:65], v[56:57]
	v_mul_f64 v[234:235], v[136:137], s[0:1]
	v_mul_f64 v[136:137], v[136:137], s[10:11]
	;; [unrolled: 1-line block ×4, first 2 shown]
	v_add_f64 v[130:131], v[134:135], -v[130:131]
	v_add_f64 v[58:59], v[70:71], v[58:59]
	v_add_f64 v[56:57], v[68:69], v[56:57]
	v_mul_f64 v[238:239], v[148:149], s[10:11]
	v_mul_f64 v[148:149], v[148:149], s[20:21]
	;; [unrolled: 1-line block ×5, first 2 shown]
	v_add_f64 v[132:133], v[132:133], v[136:137]
	v_add_f64 v[142:143], v[146:147], -v[142:143]
	v_add_f64 v[130:131], v[60:61], v[130:131]
	v_add_f64 v[58:59], v[74:75], v[58:59]
	;; [unrolled: 1-line block ×3, first 2 shown]
	v_mul_f64 v[242:243], v[160:161], s[6:7]
	v_mul_f64 v[160:161], v[160:161], s[18:19]
	;; [unrolled: 1-line block ×4, first 2 shown]
	v_add_f64 v[220:221], v[252:253], v[220:221]
	v_mul_f64 v[252:253], v[204:205], s[6:7]
	v_add_f64 v[144:145], v[144:145], v[148:149]
	v_add_f64 v[132:133], v[62:63], v[132:133]
	v_add_f64 v[154:155], v[158:159], -v[154:155]
	v_add_f64 v[130:131], v[142:143], v[130:131]
	v_add_f64 v[58:59], v[78:79], v[58:59]
	;; [unrolled: 1-line block ×3, first 2 shown]
	v_mul_f64 v[248:249], v[184:185], s[26:27]
	v_mul_f64 v[184:185], v[184:185], s[42:43]
	v_add_f64 v[208:209], v[252:253], v[208:209]
	v_mul_f64 v[252:253], v[192:193], s[14:15]
	v_add_f64 v[156:157], v[156:157], v[160:161]
	v_add_f64 v[132:133], v[144:145], v[132:133]
	v_add_f64 v[160:161], v[170:171], -v[166:167]
	v_add_f64 v[130:131], v[154:155], v[130:131]
	v_add_f64 v[58:59], v[82:83], v[58:59]
	;; [unrolled: 1-line block ×4, first 2 shown]
	v_mul_f64 v[252:253], v[194:195], s[16:17]
	v_mul_f64 v[194:195], v[194:195], s[38:39]
	v_add_f64 v[132:133], v[156:157], v[132:133]
	v_add_f64 v[156:157], v[178:179], -v[184:185]
	v_add_f64 v[130:131], v[160:161], v[130:131]
	v_add_f64 v[126:127], v[126:127], v[234:235]
	;; [unrolled: 1-line block ×4, first 2 shown]
	v_mul_f64 v[250:251], v[182:183], s[14:15]
	v_mul_f64 v[182:183], v[182:183], s[24:25]
	v_add_f64 v[148:149], v[190:191], -v[194:195]
	v_add_f64 v[130:131], v[156:157], v[130:131]
	v_add_f64 v[140:141], v[140:141], v[238:239]
	;; [unrolled: 1-line block ×5, first 2 shown]
	v_mul_f64 v[246:247], v[172:173], s[20:21]
	v_add_f64 v[180:181], v[182:183], v[180:181]
	v_mul_f64 v[182:183], v[206:207], s[22:23]
	v_mul_f64 v[206:207], v[206:207], s[40:41]
	v_add_f64 v[130:131], v[148:149], v[130:131]
	v_add_f64 v[148:149], v[152:153], v[242:243]
	v_add_f64 v[126:127], v[140:141], v[126:127]
	v_add_f64 v[124:125], v[224:225], -v[124:125]
	v_add_f64 v[58:59], v[94:95], v[58:59]
	v_add_f64 v[56:57], v[92:93], v[56:57]
	v_add_f64 v[144:145], v[202:203], -v[206:207]
	v_add_f64 v[146:147], v[164:165], v[246:247]
	v_add_f64 v[126:127], v[148:149], v[126:127]
	;; [unrolled: 3-line block ×3, first 2 shown]
	v_add_f64 v[56:57], v[96:97], v[56:57]
	v_mul_f64 v[172:173], v[172:173], s[30:31]
	v_mul_f64 v[192:193], v[192:193], s[18:19]
	v_add_f64 v[130:131], v[144:145], v[130:131]
	v_add_f64 v[144:145], v[250:251], v[176:177]
	;; [unrolled: 1-line block ×3, first 2 shown]
	v_add_f64 v[146:147], v[240:241], -v[150:151]
	v_add_f64 v[124:125], v[138:139], v[124:125]
	v_add_f64 v[58:59], v[102:103], v[58:59]
	;; [unrolled: 1-line block ×4, first 2 shown]
	v_mul_f64 v[172:173], v[216:217], s[28:29]
	v_mul_f64 v[216:217], v[216:217], s[44:45]
	v_add_f64 v[142:143], v[192:193], v[188:189]
	v_add_f64 v[126:127], v[144:145], v[126:127]
	v_add_f64 v[144:145], v[244:245], -v[162:163]
	v_add_f64 v[124:125], v[146:147], v[124:125]
	v_add_f64 v[58:59], v[106:107], v[58:59]
	;; [unrolled: 1-line block ×3, first 2 shown]
	v_mul_f64 v[204:205], v[204:205], s[24:25]
	v_add_f64 v[132:133], v[168:169], v[132:133]
	v_add_f64 v[136:137], v[218:219], -v[216:217]
	v_add_f64 v[126:127], v[142:143], v[126:127]
	v_add_f64 v[142:143], v[174:175], -v[248:249]
	v_add_f64 v[124:125], v[144:145], v[124:125]
	v_add_f64 v[58:59], v[110:111], v[58:59]
	;; [unrolled: 1-line block ×3, first 2 shown]
	v_mul_f64 v[214:215], v[214:215], s[30:31]
	v_add_f64 v[132:133], v[180:181], v[132:133]
	v_add_f64 v[130:131], v[136:137], v[130:131]
	;; [unrolled: 1-line block ×3, first 2 shown]
	v_add_f64 v[140:141], v[186:187], -v[252:253]
	v_add_f64 v[124:125], v[142:143], v[124:125]
	v_add_f64 v[58:59], v[114:115], v[58:59]
	;; [unrolled: 1-line block ×6, first 2 shown]
	v_add_f64 v[136:137], v[198:199], -v[182:183]
	v_add_f64 v[124:125], v[140:141], v[124:125]
	v_add_f64 v[58:59], v[118:119], v[58:59]
	;; [unrolled: 1-line block ×5, first 2 shown]
	v_add_f64 v[134:135], v[210:211], -v[172:173]
	v_add_f64 v[124:125], v[136:137], v[124:125]
	v_add_f64 v[58:59], v[122:123], v[58:59]
	;; [unrolled: 1-line block ×3, first 2 shown]
	v_add_lshl_u32 v60, v231, v222, 4
	v_add_f64 v[132:133], v[220:221], v[132:133]
	v_add_f64 v[124:125], v[134:135], v[124:125]
	ds_write_b128 v60, v[56:59]
	ds_write_b128 v60, v[124:127] offset:16
	ds_write_b128 v60, v[130:133] offset:32
	;; [unrolled: 1-line block ×16, first 2 shown]
.LBB0_7:
	s_or_b64 exec, exec, s[34:35]
	v_lshlrev_b32_e32 v64, 5, v230
	s_load_dwordx4 s[0:3], s[2:3], 0x0
	s_waitcnt lgkmcnt(0)
	s_barrier
	global_load_dwordx4 v[60:63], v64, s[4:5]
	global_load_dwordx4 v[56:59], v64, s[4:5] offset:16
	v_add_lshl_u32 v195, v231, v230, 4
	ds_read_b128 v[64:67], v195
	ds_read_b128 v[68:71], v195 offset:272
	ds_read_b128 v[72:75], v195 offset:544
	s_mov_b32 s4, 0xe8584caa
	s_mov_b32 s5, 0x3febb67a
	;; [unrolled: 1-line block ×4, first 2 shown]
	v_lshl_add_u32 v194, v230, 4, v232
	s_waitcnt vmcnt(1) lgkmcnt(1)
	v_mul_f64 v[76:77], v[70:71], v[62:63]
	v_mul_f64 v[78:79], v[68:69], v[62:63]
	s_waitcnt vmcnt(0) lgkmcnt(0)
	v_mul_f64 v[80:81], v[74:75], v[58:59]
	v_mul_f64 v[82:83], v[72:73], v[58:59]
	v_fma_f64 v[68:69], v[68:69], v[60:61], -v[76:77]
	v_fmac_f64_e32 v[78:79], v[70:71], v[60:61]
	v_fma_f64 v[70:71], v[72:73], v[56:57], -v[80:81]
	v_fmac_f64_e32 v[82:83], v[74:75], v[56:57]
	v_add_f64 v[74:75], v[68:69], v[70:71]
	v_add_f64 v[76:77], v[78:79], -v[82:83]
	v_add_f64 v[80:81], v[66:67], v[78:79]
	v_add_f64 v[78:79], v[78:79], v[82:83]
	;; [unrolled: 1-line block ×3, first 2 shown]
	v_add_f64 v[84:85], v[68:69], -v[70:71]
	v_fmac_f64_e32 v[64:65], -0.5, v[74:75]
	v_fmac_f64_e32 v[66:67], -0.5, v[78:79]
	v_add_f64 v[68:69], v[72:73], v[70:71]
	v_add_f64 v[70:71], v[80:81], v[82:83]
	v_fma_f64 v[72:73], s[4:5], v[76:77], v[64:65]
	v_fmac_f64_e32 v[64:65], s[6:7], v[76:77]
	v_fma_f64 v[74:75], s[6:7], v[84:85], v[66:67]
	v_fmac_f64_e32 v[66:67], s[4:5], v[84:85]
	ds_write_b128 v194, v[68:71]
	ds_write_b128 v194, v[72:75] offset:272
	ds_write_b128 v194, v[64:67] offset:544
	s_waitcnt lgkmcnt(0)
	s_barrier
	s_and_saveexec_b64 s[4:5], vcc
	s_cbranch_execz .LBB0_9
; %bb.8:
	global_load_dwordx4 v[76:79], v226, s[8:9] offset:816
	s_add_u32 s6, s8, 0x330
	s_addc_u32 s7, s9, 0
	global_load_dwordx4 v[80:83], v226, s[6:7] offset:48
	global_load_dwordx4 v[84:87], v226, s[6:7] offset:96
	;; [unrolled: 1-line block ×12, first 2 shown]
	ds_read_b128 v[130:133], v194
	ds_read_b128 v[134:137], v194 offset:48
	global_load_dwordx4 v[138:141], v226, s[6:7] offset:624
	ds_read_b128 v[142:145], v194 offset:96
	ds_read_b128 v[146:149], v194 offset:144
	;; [unrolled: 1-line block ×6, first 2 shown]
	global_load_dwordx4 v[166:169], v226, s[6:7] offset:672
	ds_read_b128 v[170:173], v194 offset:384
	ds_read_b128 v[174:177], v194 offset:432
	;; [unrolled: 1-line block ×4, first 2 shown]
	global_load_dwordx4 v[186:189], v226, s[6:7] offset:720
	global_load_dwordx4 v[190:193], v226, s[6:7] offset:768
	s_waitcnt vmcnt(10) lgkmcnt(5)
	v_mul_f64 v[200:201], v[160:161], v[102:103]
	s_waitcnt vmcnt(9) lgkmcnt(4)
	v_mul_f64 v[202:203], v[164:165], v[106:107]
	;; [unrolled: 2-line block ×3, first 2 shown]
	v_mul_f64 v[196:197], v[132:133], v[78:79]
	v_mul_f64 v[198:199], v[130:131], v[78:79]
	v_fma_f64 v[196:197], v[130:131], v[76:77], -v[196:197]
	v_fmac_f64_e32 v[198:199], v[132:133], v[76:77]
	v_mul_f64 v[76:77], v[136:137], v[82:83]
	v_mul_f64 v[78:79], v[134:135], v[82:83]
	ds_write_b128 v194, v[196:199]
	v_mul_f64 v[130:131], v[144:145], v[86:87]
	v_mul_f64 v[82:83], v[142:143], v[86:87]
	;; [unrolled: 1-line block ×11, first 2 shown]
	s_waitcnt vmcnt(7) lgkmcnt(3)
	v_mul_f64 v[206:207], v[176:177], v[114:115]
	v_mul_f64 v[110:111], v[174:175], v[114:115]
	s_waitcnt vmcnt(6) lgkmcnt(2)
	v_mul_f64 v[208:209], v[180:181], v[118:119]
	v_mul_f64 v[114:115], v[178:179], v[118:119]
	v_fma_f64 v[76:77], v[134:135], v[80:81], -v[76:77]
	v_fmac_f64_e32 v[78:79], v[136:137], v[80:81]
	v_fma_f64 v[80:81], v[142:143], v[84:85], -v[130:131]
	v_fmac_f64_e32 v[82:83], v[144:145], v[84:85]
	v_fma_f64 v[84:85], v[146:147], v[88:89], -v[132:133]
	v_fmac_f64_e32 v[86:87], v[148:149], v[88:89]
	v_fma_f64 v[88:89], v[150:151], v[92:93], -v[196:197]
	v_fmac_f64_e32 v[90:91], v[152:153], v[92:93]
	v_fma_f64 v[92:93], v[154:155], v[96:97], -v[198:199]
	v_fmac_f64_e32 v[94:95], v[156:157], v[96:97]
	v_fma_f64 v[96:97], v[158:159], v[100:101], -v[200:201]
	v_fmac_f64_e32 v[98:99], v[160:161], v[100:101]
	v_fma_f64 v[100:101], v[162:163], v[104:105], -v[202:203]
	v_fmac_f64_e32 v[102:103], v[164:165], v[104:105]
	v_fma_f64 v[104:105], v[170:171], v[108:109], -v[204:205]
	v_fmac_f64_e32 v[106:107], v[172:173], v[108:109]
	v_fma_f64 v[108:109], v[174:175], v[112:113], -v[206:207]
	v_fmac_f64_e32 v[110:111], v[176:177], v[112:113]
	v_fma_f64 v[112:113], v[178:179], v[116:117], -v[208:209]
	v_fmac_f64_e32 v[114:115], v[180:181], v[116:117]
	ds_write_b128 v194, v[76:79] offset:48
	ds_write_b128 v194, v[80:83] offset:96
	;; [unrolled: 1-line block ×10, first 2 shown]
	ds_read_b128 v[80:83], v194 offset:576
	s_waitcnt vmcnt(5) lgkmcnt(12)
	v_mul_f64 v[76:77], v[184:185], v[122:123]
	v_mul_f64 v[78:79], v[182:183], v[122:123]
	v_fma_f64 v[76:77], v[182:183], v[120:121], -v[76:77]
	v_fmac_f64_e32 v[78:79], v[184:185], v[120:121]
	ds_write_b128 v194, v[76:79] offset:528
	ds_read_b128 v[76:79], v194 offset:624
	s_waitcnt vmcnt(4) lgkmcnt(2)
	v_mul_f64 v[84:85], v[82:83], v[126:127]
	v_mul_f64 v[86:87], v[80:81], v[126:127]
	v_fma_f64 v[84:85], v[80:81], v[124:125], -v[84:85]
	v_fmac_f64_e32 v[86:87], v[82:83], v[124:125]
	ds_write_b128 v194, v[84:87] offset:576
	ds_read_b128 v[84:87], v194 offset:672
	s_waitcnt vmcnt(3) lgkmcnt(2)
	v_mul_f64 v[80:81], v[78:79], v[140:141]
	v_mul_f64 v[82:83], v[76:77], v[140:141]
	v_fma_f64 v[80:81], v[76:77], v[138:139], -v[80:81]
	v_fmac_f64_e32 v[82:83], v[78:79], v[138:139]
	ds_read_b128 v[76:79], v194 offset:720
	ds_write_b128 v194, v[80:83] offset:624
	s_waitcnt vmcnt(2) lgkmcnt(2)
	v_mul_f64 v[80:81], v[86:87], v[168:169]
	v_mul_f64 v[82:83], v[84:85], v[168:169]
	v_fma_f64 v[80:81], v[84:85], v[166:167], -v[80:81]
	v_fmac_f64_e32 v[82:83], v[86:87], v[166:167]
	ds_write_b128 v194, v[80:83] offset:672
	ds_read_b128 v[80:83], v194 offset:768
	s_waitcnt vmcnt(1) lgkmcnt(3)
	v_mul_f64 v[84:85], v[78:79], v[188:189]
	v_mul_f64 v[86:87], v[76:77], v[188:189]
	v_fma_f64 v[84:85], v[76:77], v[186:187], -v[84:85]
	v_fmac_f64_e32 v[86:87], v[78:79], v[186:187]
	s_waitcnt vmcnt(0) lgkmcnt(0)
	v_mul_f64 v[76:77], v[82:83], v[192:193]
	v_mul_f64 v[78:79], v[80:81], v[192:193]
	v_fma_f64 v[76:77], v[80:81], v[190:191], -v[76:77]
	v_fmac_f64_e32 v[78:79], v[82:83], v[190:191]
	ds_write_b128 v194, v[84:87] offset:720
	ds_write_b128 v194, v[76:79] offset:768
.LBB0_9:
	s_or_b64 exec, exec, s[4:5]
	s_waitcnt lgkmcnt(0)
	s_barrier
	s_and_saveexec_b64 s[4:5], vcc
	s_cbranch_execz .LBB0_11
; %bb.10:
	ds_read_b128 v[68:71], v194
	ds_read_b128 v[72:75], v194 offset:48
	ds_read_b128 v[64:67], v194 offset:96
	;; [unrolled: 1-line block ×16, first 2 shown]
.LBB0_11:
	s_or_b64 exec, exec, s[4:5]
	s_waitcnt lgkmcnt(0)
	s_barrier
	s_and_saveexec_b64 s[4:5], vcc
	s_cbranch_execz .LBB0_13
; %bb.12:
	s_mov_b32 s30, 0xacd6c6b4
	s_mov_b32 s44, 0x5d8e7cdc
	v_add_f64 v[176:177], v[72:73], -v[4:5]
	s_mov_b32 s31, 0xbfc7851a
	s_mov_b32 s36, 0x7faef3
	s_mov_b32 s24, 0x4363dd80
	v_add_f64 v[168:169], v[64:65], -v[8:9]
	s_mov_b32 s45, 0x3fd71e95
	s_mov_b32 s26, 0x370991
	v_mul_f64 v[104:105], v[176:177], s[30:31]
	v_add_f64 v[152:153], v[74:75], v[6:7]
	s_mov_b32 s37, 0xbfef7484
	v_add_f64 v[192:193], v[74:75], -v[6:7]
	s_mov_b32 s50, 0x2a9d6da3
	v_add_f64 v[160:161], v[0:1], -v[16:17]
	s_mov_b32 s25, 0xbfe0d888
	s_mov_b32 s28, 0x910ea3b9
	v_mul_f64 v[100:101], v[168:169], s[44:45]
	v_add_f64 v[148:149], v[66:67], v[10:11]
	s_mov_b32 s27, 0x3fedd6d0
	v_fma_f64 v[106:107], s[36:37], v[152:153], v[104:105]
	v_add_f64 v[190:191], v[66:67], -v[10:11]
	v_add_f64 v[174:175], v[72:73], v[4:5]
	v_mul_f64 v[122:123], v[192:193], s[30:31]
	s_mov_b32 s18, 0x6c9a05f6
	v_add_f64 v[154:155], v[12:13], -v[24:25]
	s_mov_b32 s51, 0x3fe58eea
	s_mov_b32 s20, 0x75d4884
	v_mul_f64 v[96:97], v[160:161], s[24:25]
	v_add_f64 v[144:145], v[2:3], v[18:19]
	s_mov_b32 s29, 0xbfeb34fa
	v_fma_f64 v[102:103], s[26:27], v[148:149], v[100:101]
	v_add_f64 v[106:107], v[70:71], v[106:107]
	v_add_f64 v[188:189], v[2:3], -v[18:19]
	v_add_f64 v[172:173], v[64:65], v[8:9]
	v_mul_f64 v[118:119], v[190:191], s[44:45]
	v_fma_f64 v[124:125], v[174:175], s[36:37], -v[122:123]
	s_mov_b32 s34, 0x7c9e640b
	v_add_f64 v[150:151], v[20:21], -v[32:33]
	s_mov_b32 s19, 0xbfe9895b
	s_mov_b32 s22, 0x6ed5f1bb
	v_mul_f64 v[92:93], v[154:155], s[50:51]
	v_add_f64 v[140:141], v[14:15], v[26:27]
	s_mov_b32 s21, 0x3fe7a5f6
	v_fma_f64 v[98:99], s[28:29], v[144:145], v[96:97]
	v_add_f64 v[102:103], v[102:103], v[106:107]
	v_add_f64 v[186:187], v[14:15], -v[26:27]
	v_add_f64 v[170:171], v[0:1], v[16:17]
	v_mul_f64 v[114:115], v[188:189], s[24:25]
	v_fma_f64 v[120:121], v[172:173], s[26:27], -v[118:119]
	v_add_f64 v[124:125], v[68:69], v[124:125]
	s_mov_b32 s10, 0x923c349f
	v_add_f64 v[146:147], v[28:29], -v[36:37]
	s_mov_b32 s35, 0x3feca52d
	s_mov_b32 s14, 0x2b2883cd
	v_mul_f64 v[88:89], v[150:151], s[18:19]
	v_add_f64 v[136:137], v[34:35], v[22:23]
	s_mov_b32 s23, 0xbfe348c8
	v_fma_f64 v[94:95], s[20:21], v[140:141], v[92:93]
	v_add_f64 v[98:99], v[98:99], v[102:103]
	v_add_f64 v[184:185], v[32:33], v[20:21]
	;; [unrolled: 1-line block ×3, first 2 shown]
	v_mul_f64 v[110:111], v[186:187], s[50:51]
	v_fma_f64 v[116:117], v[170:171], s[28:29], -v[114:115]
	v_add_f64 v[120:121], v[120:121], v[124:125]
	s_mov_b32 s48, 0xeb564b22
	v_add_f64 v[142:143], v[40:41], -v[44:45]
	s_mov_b32 s11, 0xbfeec746
	s_mov_b32 s16, 0xc61f0d01
	v_mul_f64 v[84:85], v[146:147], s[34:35]
	v_add_f64 v[134:135], v[38:39], v[30:31]
	s_mov_b32 s15, 0x3fdc86fa
	v_fma_f64 v[90:91], s[22:23], v[136:137], v[88:89]
	v_add_f64 v[94:95], v[94:95], v[98:99]
	v_add_f64 v[182:183], v[36:37], v[28:29]
	v_mul_f64 v[106:107], v[184:185], s[22:23]
	v_add_f64 v[164:165], v[22:23], -v[34:35]
	s_mov_b32 s47, 0x3fe9895b
	s_mov_b32 s46, s18
	v_fma_f64 v[112:113], v[166:167], s[20:21], -v[110:111]
	v_add_f64 v[116:117], v[116:117], v[120:121]
	v_add_f64 v[138:139], v[48:49], -v[52:53]
	s_mov_b32 s49, 0x3fefdd0d
	s_mov_b32 s6, 0x3259b75e
	v_mul_f64 v[82:83], v[142:143], s[10:11]
	v_add_f64 v[132:133], v[46:47], v[42:43]
	s_mov_b32 s17, 0xbfd183b1
	v_fma_f64 v[86:87], s[14:15], v[134:135], v[84:85]
	v_add_f64 v[90:91], v[90:91], v[94:95]
	v_add_f64 v[180:181], v[44:45], v[40:41]
	v_mul_f64 v[98:99], v[182:183], s[14:15]
	v_add_f64 v[162:163], v[30:31], -v[38:39]
	s_mov_b32 s43, 0xbfeca52d
	s_mov_b32 s42, s34
	v_fma_f64 v[108:109], s[46:47], v[164:165], v[106:107]
	v_add_f64 v[112:113], v[112:113], v[116:117]
	v_mul_f64 v[80:81], v[138:139], s[48:49]
	v_add_f64 v[130:131], v[54:55], v[50:51]
	s_mov_b32 s7, 0x3fb79ee6
	v_fma_f64 v[78:79], s[16:17], v[132:133], v[82:83]
	v_add_f64 v[86:87], v[86:87], v[90:91]
	v_add_f64 v[178:179], v[52:53], v[48:49]
	v_mul_f64 v[90:91], v[180:181], s[16:17]
	v_add_f64 v[158:159], v[42:43], -v[46:47]
	s_mov_b32 s41, 0x3feec746
	s_mov_b32 s40, s10
	v_fma_f64 v[102:103], s[42:43], v[162:163], v[98:99]
	v_add_f64 v[108:109], v[108:109], v[112:113]
	v_fma_f64 v[76:77], s[6:7], v[130:131], v[80:81]
	v_add_f64 v[78:79], v[78:79], v[86:87]
	v_mul_f64 v[86:87], v[178:179], s[6:7]
	v_add_f64 v[156:157], v[50:51], -v[54:55]
	s_mov_b32 s39, 0xbfefdd0d
	s_mov_b32 s38, s48
	v_fma_f64 v[94:95], s[40:41], v[158:159], v[90:91]
	v_add_f64 v[102:103], v[102:103], v[108:109]
	v_add_f64 v[78:79], v[76:77], v[78:79]
	v_fma_f64 v[76:77], s[38:39], v[156:157], v[86:87]
	v_add_f64 v[94:95], v[94:95], v[102:103]
	v_add_f64 v[76:77], v[76:77], v[94:95]
	v_fma_f64 v[94:95], v[144:145], s[28:29], -v[96:97]
	v_fma_f64 v[96:97], v[148:149], s[26:27], -v[100:101]
	;; [unrolled: 1-line block ×3, first 2 shown]
	v_add_f64 v[100:101], v[70:71], v[100:101]
	v_add_f64 v[96:97], v[96:97], v[100:101]
	v_fma_f64 v[92:93], v[140:141], s[20:21], -v[92:93]
	v_add_f64 v[94:95], v[94:95], v[96:97]
	v_fma_f64 v[88:89], v[136:137], s[22:23], -v[88:89]
	;; [unrolled: 2-line block ×5, first 2 shown]
	v_add_f64 v[82:83], v[82:83], v[84:85]
	v_fmac_f64_e32 v[122:123], s[36:37], v[174:175]
	v_add_f64 v[82:83], v[80:81], v[82:83]
	v_fmac_f64_e32 v[118:119], s[26:27], v[172:173]
	;; [unrolled: 2-line block ×3, first 2 shown]
	v_add_f64 v[80:81], v[118:119], v[80:81]
	v_mul_f64 v[112:113], v[176:177], s[24:25]
	v_fmac_f64_e32 v[110:111], s[20:21], v[166:167]
	v_add_f64 v[80:81], v[114:115], v[80:81]
	v_mul_f64 v[108:109], v[168:169], s[34:35]
	v_fma_f64 v[114:115], s[28:29], v[152:153], v[112:113]
	v_mul_f64 v[198:199], v[192:193], s[24:25]
	v_fmac_f64_e32 v[106:107], s[18:19], v[164:165]
	v_add_f64 v[80:81], v[110:111], v[80:81]
	v_mul_f64 v[104:105], v[160:161], s[38:39]
	v_fma_f64 v[110:111], s[14:15], v[148:149], v[108:109]
	v_add_f64 v[114:115], v[70:71], v[114:115]
	v_mul_f64 v[126:127], v[190:191], s[34:35]
	v_fma_f64 v[200:201], v[174:175], s[28:29], -v[198:199]
	v_add_f64 v[80:81], v[106:107], v[80:81]
	s_mov_b32 s53, 0xbfd71e95
	s_mov_b32 s52, s44
	v_mul_f64 v[100:101], v[154:155], s[46:47]
	v_fma_f64 v[106:107], s[6:7], v[144:145], v[104:105]
	v_add_f64 v[110:111], v[110:111], v[114:115]
	v_mul_f64 v[122:123], v[188:189], s[38:39]
	v_fma_f64 v[196:197], v[172:173], s[14:15], -v[126:127]
	v_add_f64 v[200:201], v[68:69], v[200:201]
	v_fmac_f64_e32 v[98:99], s[34:35], v[162:163]
	v_mul_f64 v[96:97], v[150:151], s[52:53]
	v_fma_f64 v[102:103], s[22:23], v[140:141], v[100:101]
	v_add_f64 v[106:107], v[106:107], v[110:111]
	v_mul_f64 v[118:119], v[186:187], s[46:47]
	v_fma_f64 v[124:125], v[170:171], s[6:7], -v[122:123]
	v_add_f64 v[196:197], v[196:197], v[200:201]
	v_fmac_f64_e32 v[90:91], s[10:11], v[158:159]
	v_add_f64 v[80:81], v[98:99], v[80:81]
	v_mul_f64 v[92:93], v[146:147], s[30:31]
	v_fma_f64 v[98:99], s[26:27], v[136:137], v[96:97]
	v_add_f64 v[102:103], v[102:103], v[106:107]
	v_mul_f64 v[114:115], v[184:185], s[26:27]
	v_fma_f64 v[120:121], v[166:167], s[22:23], -v[118:119]
	v_add_f64 v[124:125], v[124:125], v[196:197]
	v_fmac_f64_e32 v[86:87], s[48:49], v[156:157]
	v_add_f64 v[80:81], v[90:91], v[80:81]
	v_mul_f64 v[90:91], v[142:143], s[50:51]
	v_fma_f64 v[94:95], s[36:37], v[134:135], v[92:93]
	v_add_f64 v[98:99], v[98:99], v[102:103]
	v_mul_f64 v[106:107], v[182:183], s[36:37]
	s_mov_b32 s56, s30
	v_fma_f64 v[116:117], s[44:45], v[164:165], v[114:115]
	v_add_f64 v[120:121], v[120:121], v[124:125]
	v_add_f64 v[80:81], v[86:87], v[80:81]
	v_mul_f64 v[88:89], v[138:139], s[10:11]
	v_fma_f64 v[86:87], s[20:21], v[132:133], v[90:91]
	v_add_f64 v[94:95], v[94:95], v[98:99]
	v_mul_f64 v[98:99], v[180:181], s[20:21]
	s_mov_b32 s55, 0xbfe58eea
	s_mov_b32 s54, s50
	v_fma_f64 v[110:111], s[56:57], v[162:163], v[106:107]
	v_add_f64 v[116:117], v[116:117], v[120:121]
	v_fma_f64 v[84:85], s[16:17], v[130:131], v[88:89]
	v_add_f64 v[86:87], v[86:87], v[94:95]
	v_mul_f64 v[94:95], v[178:179], s[16:17]
	v_fma_f64 v[102:103], s[54:55], v[158:159], v[98:99]
	v_add_f64 v[110:111], v[110:111], v[116:117]
	v_add_f64 v[86:87], v[84:85], v[86:87]
	v_fma_f64 v[84:85], s[40:41], v[156:157], v[94:95]
	v_add_f64 v[102:103], v[102:103], v[110:111]
	v_add_f64 v[84:85], v[84:85], v[102:103]
	v_fma_f64 v[102:103], v[144:145], s[6:7], -v[104:105]
	v_fma_f64 v[104:105], v[148:149], s[14:15], -v[108:109]
	;; [unrolled: 1-line block ×3, first 2 shown]
	v_add_f64 v[108:109], v[70:71], v[108:109]
	v_add_f64 v[104:105], v[104:105], v[108:109]
	v_fma_f64 v[100:101], v[140:141], s[22:23], -v[100:101]
	v_add_f64 v[102:103], v[102:103], v[104:105]
	v_fma_f64 v[96:97], v[136:137], s[26:27], -v[96:97]
	;; [unrolled: 2-line block ×5, first 2 shown]
	v_add_f64 v[90:91], v[90:91], v[92:93]
	v_fmac_f64_e32 v[198:199], s[28:29], v[174:175]
	v_add_f64 v[90:91], v[88:89], v[90:91]
	v_fmac_f64_e32 v[126:127], s[14:15], v[172:173]
	;; [unrolled: 2-line block ×3, first 2 shown]
	v_add_f64 v[88:89], v[126:127], v[88:89]
	v_mul_f64 v[120:121], v[176:177], s[18:19]
	v_fmac_f64_e32 v[118:119], s[22:23], v[166:167]
	v_add_f64 v[88:89], v[122:123], v[88:89]
	v_mul_f64 v[116:117], v[168:169], s[40:41]
	v_fma_f64 v[122:123], s[22:23], v[152:153], v[120:121]
	v_mul_f64 v[206:207], v[192:193], s[18:19]
	v_fmac_f64_e32 v[114:115], s[52:53], v[164:165]
	v_add_f64 v[88:89], v[118:119], v[88:89]
	v_mul_f64 v[112:113], v[160:161], s[52:53]
	v_fma_f64 v[118:119], s[16:17], v[148:149], v[116:117]
	v_add_f64 v[122:123], v[70:71], v[122:123]
	v_mul_f64 v[202:203], v[190:191], s[40:41]
	v_fma_f64 v[208:209], v[174:175], s[22:23], -v[206:207]
	v_add_f64 v[88:89], v[114:115], v[88:89]
	v_mul_f64 v[108:109], v[154:155], s[24:25]
	v_fma_f64 v[114:115], s[26:27], v[144:145], v[112:113]
	v_add_f64 v[118:119], v[118:119], v[122:123]
	v_mul_f64 v[198:199], v[188:189], s[52:53]
	v_fma_f64 v[204:205], v[172:173], s[16:17], -v[202:203]
	v_add_f64 v[208:209], v[68:69], v[208:209]
	v_fmac_f64_e32 v[106:107], s[30:31], v[162:163]
	v_mul_f64 v[104:105], v[150:151], s[48:49]
	v_fma_f64 v[110:111], s[28:29], v[140:141], v[108:109]
	v_add_f64 v[114:115], v[114:115], v[118:119]
	v_mul_f64 v[126:127], v[186:187], s[24:25]
	v_fma_f64 v[200:201], v[170:171], s[26:27], -v[198:199]
	v_add_f64 v[204:205], v[204:205], v[208:209]
	v_fmac_f64_e32 v[98:99], s[50:51], v[158:159]
	v_add_f64 v[88:89], v[106:107], v[88:89]
	v_mul_f64 v[100:101], v[146:147], s[54:55]
	v_fma_f64 v[106:107], s[6:7], v[136:137], v[104:105]
	v_add_f64 v[110:111], v[110:111], v[114:115]
	v_mul_f64 v[122:123], v[184:185], s[6:7]
	v_fma_f64 v[196:197], v[166:167], s[28:29], -v[126:127]
	v_add_f64 v[200:201], v[200:201], v[204:205]
	v_fmac_f64_e32 v[94:95], s[10:11], v[156:157]
	v_add_f64 v[88:89], v[98:99], v[88:89]
	v_mul_f64 v[98:99], v[142:143], s[30:31]
	v_fma_f64 v[102:103], s[20:21], v[134:135], v[100:101]
	v_add_f64 v[106:107], v[106:107], v[110:111]
	v_mul_f64 v[114:115], v[182:183], s[20:21]
	v_fma_f64 v[124:125], s[38:39], v[164:165], v[122:123]
	v_add_f64 v[196:197], v[196:197], v[200:201]
	v_add_f64 v[88:89], v[94:95], v[88:89]
	v_mul_f64 v[96:97], v[138:139], s[34:35]
	v_fma_f64 v[94:95], s[36:37], v[132:133], v[98:99]
	v_add_f64 v[102:103], v[102:103], v[106:107]
	v_mul_f64 v[106:107], v[180:181], s[36:37]
	v_fma_f64 v[118:119], s[50:51], v[162:163], v[114:115]
	v_add_f64 v[124:125], v[124:125], v[196:197]
	v_fma_f64 v[92:93], s[14:15], v[130:131], v[96:97]
	v_add_f64 v[94:95], v[94:95], v[102:103]
	v_mul_f64 v[102:103], v[178:179], s[14:15]
	v_fma_f64 v[110:111], s[56:57], v[158:159], v[106:107]
	v_add_f64 v[118:119], v[118:119], v[124:125]
	v_add_f64 v[94:95], v[92:93], v[94:95]
	v_fma_f64 v[92:93], s[42:43], v[156:157], v[102:103]
	v_add_f64 v[110:111], v[110:111], v[118:119]
	v_add_f64 v[92:93], v[92:93], v[110:111]
	v_fma_f64 v[110:111], v[144:145], s[26:27], -v[112:113]
	v_fma_f64 v[112:113], v[148:149], s[16:17], -v[116:117]
	;; [unrolled: 1-line block ×3, first 2 shown]
	v_add_f64 v[116:117], v[70:71], v[116:117]
	v_add_f64 v[112:113], v[112:113], v[116:117]
	v_fma_f64 v[108:109], v[140:141], s[28:29], -v[108:109]
	v_add_f64 v[110:111], v[110:111], v[112:113]
	v_fma_f64 v[104:105], v[136:137], s[6:7], -v[104:105]
	;; [unrolled: 2-line block ×5, first 2 shown]
	v_add_f64 v[98:99], v[98:99], v[100:101]
	v_fmac_f64_e32 v[206:207], s[22:23], v[174:175]
	v_add_f64 v[98:99], v[96:97], v[98:99]
	v_fmac_f64_e32 v[202:203], s[16:17], v[172:173]
	;; [unrolled: 2-line block ×3, first 2 shown]
	v_add_f64 v[96:97], v[202:203], v[96:97]
	s_mov_b32 s59, 0x3fe0d888
	s_mov_b32 s58, s24
	v_mul_f64 v[196:197], v[176:177], s[10:11]
	v_fmac_f64_e32 v[126:127], s[28:29], v[166:167]
	v_add_f64 v[96:97], v[198:199], v[96:97]
	v_mul_f64 v[124:125], v[168:169], s[58:59]
	v_fma_f64 v[198:199], s[16:17], v[152:153], v[196:197]
	v_mul_f64 v[214:215], v[192:193], s[10:11]
	v_fmac_f64_e32 v[122:123], s[48:49], v[164:165]
	v_add_f64 v[96:97], v[126:127], v[96:97]
	v_mul_f64 v[120:121], v[160:161], s[50:51]
	v_fma_f64 v[126:127], s[28:29], v[148:149], v[124:125]
	v_add_f64 v[198:199], v[70:71], v[198:199]
	v_mul_f64 v[210:211], v[190:191], s[58:59]
	v_fma_f64 v[216:217], v[174:175], s[16:17], -v[214:215]
	v_add_f64 v[96:97], v[122:123], v[96:97]
	v_mul_f64 v[116:117], v[154:155], s[42:43]
	v_fma_f64 v[122:123], s[20:21], v[144:145], v[120:121]
	v_add_f64 v[126:127], v[126:127], v[198:199]
	v_mul_f64 v[206:207], v[188:189], s[50:51]
	v_fma_f64 v[212:213], v[172:173], s[28:29], -v[210:211]
	v_add_f64 v[216:217], v[68:69], v[216:217]
	v_fmac_f64_e32 v[114:115], s[54:55], v[162:163]
	v_mul_f64 v[112:113], v[150:151], s[30:31]
	v_fma_f64 v[118:119], s[14:15], v[140:141], v[116:117]
	v_add_f64 v[122:123], v[122:123], v[126:127]
	v_mul_f64 v[202:203], v[186:187], s[42:43]
	v_fma_f64 v[208:209], v[170:171], s[20:21], -v[206:207]
	v_add_f64 v[212:213], v[212:213], v[216:217]
	v_fmac_f64_e32 v[106:107], s[30:31], v[158:159]
	v_add_f64 v[96:97], v[114:115], v[96:97]
	v_mul_f64 v[108:109], v[146:147], s[48:49]
	v_fma_f64 v[114:115], s[36:37], v[136:137], v[112:113]
	v_add_f64 v[118:119], v[118:119], v[122:123]
	v_mul_f64 v[198:199], v[184:185], s[36:37]
	v_fma_f64 v[204:205], v[166:167], s[14:15], -v[202:203]
	v_add_f64 v[208:209], v[208:209], v[212:213]
	v_fmac_f64_e32 v[102:103], s[34:35], v[156:157]
	v_add_f64 v[96:97], v[106:107], v[96:97]
	v_mul_f64 v[106:107], v[142:143], s[52:53]
	v_fma_f64 v[110:111], s[6:7], v[134:135], v[108:109]
	v_add_f64 v[114:115], v[114:115], v[118:119]
	v_mul_f64 v[122:123], v[182:183], s[6:7]
	v_fma_f64 v[200:201], s[56:57], v[164:165], v[198:199]
	v_add_f64 v[204:205], v[204:205], v[208:209]
	v_add_f64 v[96:97], v[102:103], v[96:97]
	v_mul_f64 v[104:105], v[138:139], s[18:19]
	v_fma_f64 v[102:103], s[26:27], v[132:133], v[106:107]
	v_add_f64 v[110:111], v[110:111], v[114:115]
	v_mul_f64 v[114:115], v[180:181], s[26:27]
	v_fma_f64 v[126:127], s[38:39], v[162:163], v[122:123]
	v_add_f64 v[200:201], v[200:201], v[204:205]
	v_fma_f64 v[100:101], s[22:23], v[130:131], v[104:105]
	v_add_f64 v[102:103], v[102:103], v[110:111]
	v_mul_f64 v[110:111], v[178:179], s[22:23]
	v_fma_f64 v[118:119], s[44:45], v[158:159], v[114:115]
	v_add_f64 v[126:127], v[126:127], v[200:201]
	v_add_f64 v[102:103], v[100:101], v[102:103]
	v_fma_f64 v[100:101], s[46:47], v[156:157], v[110:111]
	v_add_f64 v[118:119], v[118:119], v[126:127]
	v_add_f64 v[100:101], v[100:101], v[118:119]
	v_fma_f64 v[118:119], v[144:145], s[20:21], -v[120:121]
	v_fma_f64 v[120:121], v[148:149], s[28:29], -v[124:125]
	;; [unrolled: 1-line block ×3, first 2 shown]
	v_add_f64 v[124:125], v[70:71], v[124:125]
	v_add_f64 v[120:121], v[120:121], v[124:125]
	v_fma_f64 v[116:117], v[140:141], s[14:15], -v[116:117]
	v_add_f64 v[118:119], v[118:119], v[120:121]
	v_fma_f64 v[112:113], v[136:137], s[36:37], -v[112:113]
	;; [unrolled: 2-line block ×5, first 2 shown]
	v_add_f64 v[106:107], v[106:107], v[108:109]
	v_fmac_f64_e32 v[214:215], s[16:17], v[174:175]
	v_add_f64 v[106:107], v[104:105], v[106:107]
	v_fmac_f64_e32 v[210:211], s[28:29], v[172:173]
	;; [unrolled: 2-line block ×3, first 2 shown]
	v_add_f64 v[104:105], v[210:211], v[104:105]
	v_mul_f64 v[204:205], v[176:177], s[38:39]
	v_fmac_f64_e32 v[202:203], s[14:15], v[166:167]
	v_add_f64 v[104:105], v[206:207], v[104:105]
	v_mul_f64 v[200:201], v[168:169], s[30:31]
	v_fma_f64 v[206:207], s[6:7], v[152:153], v[204:205]
	v_mul_f64 v[224:225], v[192:193], s[38:39]
	v_fmac_f64_e32 v[198:199], s[30:31], v[164:165]
	v_add_f64 v[104:105], v[202:203], v[104:105]
	v_mul_f64 v[196:197], v[160:161], s[40:41]
	v_fma_f64 v[202:203], s[36:37], v[148:149], v[200:201]
	v_add_f64 v[206:207], v[70:71], v[206:207]
	v_mul_f64 v[218:219], v[190:191], s[30:31]
	v_fma_f64 v[234:235], v[174:175], s[6:7], -v[224:225]
	v_add_f64 v[104:105], v[198:199], v[104:105]
	v_mul_f64 v[124:125], v[154:155], s[44:45]
	v_fma_f64 v[198:199], s[16:17], v[144:145], v[196:197]
	v_add_f64 v[202:203], v[202:203], v[206:207]
	v_mul_f64 v[214:215], v[188:189], s[40:41]
	v_fma_f64 v[220:221], v[172:173], s[36:37], -v[218:219]
	v_add_f64 v[234:235], v[68:69], v[234:235]
	v_fmac_f64_e32 v[122:123], s[48:49], v[162:163]
	v_mul_f64 v[120:121], v[150:151], s[42:43]
	v_fma_f64 v[126:127], s[26:27], v[140:141], v[124:125]
	v_add_f64 v[198:199], v[198:199], v[202:203]
	v_mul_f64 v[210:211], v[186:187], s[44:45]
	v_fma_f64 v[216:217], v[170:171], s[16:17], -v[214:215]
	v_add_f64 v[220:221], v[220:221], v[234:235]
	v_fmac_f64_e32 v[114:115], s[52:53], v[158:159]
	v_add_f64 v[104:105], v[122:123], v[104:105]
	v_mul_f64 v[116:117], v[146:147], s[24:25]
	v_fma_f64 v[122:123], s[14:15], v[136:137], v[120:121]
	v_add_f64 v[126:127], v[126:127], v[198:199]
	v_mul_f64 v[206:207], v[184:185], s[14:15]
	v_fma_f64 v[212:213], v[166:167], s[26:27], -v[210:211]
	v_add_f64 v[216:217], v[216:217], v[220:221]
	v_fmac_f64_e32 v[110:111], s[18:19], v[156:157]
	v_add_f64 v[104:105], v[114:115], v[104:105]
	v_mul_f64 v[114:115], v[142:143], s[46:47]
	v_fma_f64 v[118:119], s[28:29], v[134:135], v[116:117]
	v_add_f64 v[122:123], v[122:123], v[126:127]
	v_mul_f64 v[198:199], v[182:183], s[28:29]
	v_fma_f64 v[208:209], s[34:35], v[164:165], v[206:207]
	v_add_f64 v[212:213], v[212:213], v[216:217]
	v_add_f64 v[104:105], v[110:111], v[104:105]
	v_mul_f64 v[112:113], v[138:139], s[50:51]
	v_fma_f64 v[110:111], s[22:23], v[132:133], v[114:115]
	v_add_f64 v[118:119], v[118:119], v[122:123]
	v_mul_f64 v[122:123], v[180:181], s[22:23]
	v_fma_f64 v[202:203], s[58:59], v[162:163], v[198:199]
	v_add_f64 v[208:209], v[208:209], v[212:213]
	v_fma_f64 v[108:109], s[20:21], v[130:131], v[112:113]
	v_add_f64 v[110:111], v[110:111], v[118:119]
	v_mul_f64 v[118:119], v[178:179], s[20:21]
	v_fma_f64 v[126:127], s[18:19], v[158:159], v[122:123]
	v_add_f64 v[202:203], v[202:203], v[208:209]
	v_add_f64 v[110:111], v[108:109], v[110:111]
	v_fma_f64 v[108:109], s[54:55], v[156:157], v[118:119]
	v_add_f64 v[126:127], v[126:127], v[202:203]
	v_add_f64 v[108:109], v[108:109], v[126:127]
	v_fma_f64 v[126:127], v[144:145], s[16:17], -v[196:197]
	v_fma_f64 v[196:197], v[148:149], s[36:37], -v[200:201]
	;; [unrolled: 1-line block ×3, first 2 shown]
	v_add_f64 v[200:201], v[70:71], v[200:201]
	v_add_f64 v[196:197], v[196:197], v[200:201]
	v_fma_f64 v[124:125], v[140:141], s[26:27], -v[124:125]
	v_add_f64 v[126:127], v[126:127], v[196:197]
	v_fma_f64 v[120:121], v[136:137], s[14:15], -v[120:121]
	;; [unrolled: 2-line block ×5, first 2 shown]
	v_add_f64 v[114:115], v[114:115], v[116:117]
	v_fmac_f64_e32 v[224:225], s[6:7], v[174:175]
	v_add_f64 v[114:115], v[112:113], v[114:115]
	v_fmac_f64_e32 v[218:219], s[36:37], v[172:173]
	;; [unrolled: 2-line block ×3, first 2 shown]
	v_add_f64 v[112:113], v[218:219], v[112:113]
	v_mul_f64 v[212:213], v[176:177], s[42:43]
	v_fmac_f64_e32 v[210:211], s[26:27], v[166:167]
	v_add_f64 v[112:113], v[214:215], v[112:113]
	v_mul_f64 v[208:209], v[168:169], s[18:19]
	v_fma_f64 v[214:215], s[14:15], v[152:153], v[212:213]
	v_mul_f64 v[240:241], v[192:193], s[42:43]
	v_fmac_f64_e32 v[206:207], s[42:43], v[164:165]
	v_add_f64 v[112:113], v[210:211], v[112:113]
	v_mul_f64 v[204:205], v[160:161], s[56:57]
	v_fma_f64 v[210:211], s[22:23], v[148:149], v[208:209]
	v_add_f64 v[214:215], v[70:71], v[214:215]
	v_mul_f64 v[236:237], v[190:191], s[18:19]
	v_fma_f64 v[242:243], v[174:175], s[14:15], -v[240:241]
	v_add_f64 v[112:113], v[206:207], v[112:113]
	v_mul_f64 v[200:201], v[154:155], s[40:41]
	v_fma_f64 v[206:207], s[36:37], v[144:145], v[204:205]
	v_add_f64 v[210:211], v[210:211], v[214:215]
	v_mul_f64 v[224:225], v[188:189], s[56:57]
	v_fma_f64 v[238:239], v[172:173], s[22:23], -v[236:237]
	v_add_f64 v[242:243], v[68:69], v[242:243]
	v_fmac_f64_e32 v[198:199], s[24:25], v[162:163]
	v_mul_f64 v[196:197], v[150:151], s[50:51]
	v_fma_f64 v[202:203], s[16:17], v[140:141], v[200:201]
	v_add_f64 v[206:207], v[206:207], v[210:211]
	v_mul_f64 v[218:219], v[186:187], s[40:41]
	v_fma_f64 v[234:235], v[170:171], s[36:37], -v[224:225]
	v_add_f64 v[238:239], v[238:239], v[242:243]
	v_fmac_f64_e32 v[122:123], s[46:47], v[158:159]
	v_add_f64 v[112:113], v[198:199], v[112:113]
	v_mul_f64 v[124:125], v[146:147], s[52:53]
	v_fma_f64 v[198:199], s[20:21], v[136:137], v[196:197]
	v_add_f64 v[202:203], v[202:203], v[206:207]
	v_mul_f64 v[214:215], v[184:185], s[20:21]
	v_fma_f64 v[220:221], v[166:167], s[16:17], -v[218:219]
	v_add_f64 v[234:235], v[234:235], v[238:239]
	v_fmac_f64_e32 v[118:119], s[50:51], v[156:157]
	v_add_f64 v[112:113], v[122:123], v[112:113]
	v_mul_f64 v[122:123], v[142:143], s[38:39]
	v_fma_f64 v[126:127], s[26:27], v[134:135], v[124:125]
	v_add_f64 v[198:199], v[198:199], v[202:203]
	v_mul_f64 v[206:207], v[182:183], s[26:27]
	v_fma_f64 v[216:217], s[54:55], v[164:165], v[214:215]
	v_add_f64 v[220:221], v[220:221], v[234:235]
	v_add_f64 v[112:113], v[118:119], v[112:113]
	v_mul_f64 v[120:121], v[138:139], s[24:25]
	v_fma_f64 v[118:119], s[6:7], v[132:133], v[122:123]
	v_add_f64 v[126:127], v[126:127], v[198:199]
	v_mul_f64 v[202:203], v[180:181], s[6:7]
	v_fma_f64 v[210:211], s[44:45], v[162:163], v[206:207]
	v_add_f64 v[216:217], v[216:217], v[220:221]
	v_fma_f64 v[116:117], s[28:29], v[130:131], v[120:121]
	v_add_f64 v[118:119], v[118:119], v[126:127]
	v_mul_f64 v[198:199], v[178:179], s[28:29]
	v_fma_f64 v[126:127], s[48:49], v[158:159], v[202:203]
	v_add_f64 v[210:211], v[210:211], v[216:217]
	v_add_f64 v[118:119], v[116:117], v[118:119]
	v_fma_f64 v[116:117], s[58:59], v[156:157], v[198:199]
	v_add_f64 v[126:127], v[126:127], v[210:211]
	v_add_f64 v[116:117], v[116:117], v[126:127]
	v_fma_f64 v[126:127], v[136:137], s[20:21], -v[196:197]
	v_fma_f64 v[196:197], v[140:141], s[16:17], -v[200:201]
	;; [unrolled: 1-line block ×5, first 2 shown]
	v_add_f64 v[208:209], v[70:71], v[208:209]
	v_add_f64 v[204:205], v[204:205], v[208:209]
	;; [unrolled: 1-line block ×4, first 2 shown]
	v_fma_f64 v[124:125], v[134:135], s[26:27], -v[124:125]
	v_add_f64 v[126:127], v[126:127], v[196:197]
	v_fma_f64 v[122:123], v[132:133], s[6:7], -v[122:123]
	v_add_f64 v[124:125], v[124:125], v[126:127]
	;; [unrolled: 2-line block ×3, first 2 shown]
	v_fmac_f64_e32 v[240:241], s[14:15], v[174:175]
	v_add_f64 v[126:127], v[120:121], v[122:123]
	v_fmac_f64_e32 v[236:237], s[22:23], v[172:173]
	v_add_f64 v[120:121], v[68:69], v[240:241]
	;; [unrolled: 2-line block ×3, first 2 shown]
	v_mul_f64 v[220:221], v[176:177], s[54:55]
	v_fmac_f64_e32 v[218:219], s[16:17], v[166:167]
	v_add_f64 v[120:121], v[224:225], v[120:121]
	v_mul_f64 v[216:217], v[168:169], s[38:39]
	v_fma_f64 v[224:225], s[20:21], v[152:153], v[220:221]
	v_mul_f64 v[248:249], v[192:193], s[54:55]
	v_fmac_f64_e32 v[214:215], s[50:51], v[164:165]
	v_add_f64 v[120:121], v[218:219], v[120:121]
	v_mul_f64 v[212:213], v[160:161], s[18:19]
	v_fma_f64 v[218:219], s[6:7], v[148:149], v[216:217]
	v_add_f64 v[224:225], v[70:71], v[224:225]
	v_mul_f64 v[244:245], v[190:191], s[38:39]
	v_fma_f64 v[250:251], v[174:175], s[20:21], -v[248:249]
	v_fmac_f64_e32 v[206:207], s[52:53], v[162:163]
	v_add_f64 v[120:121], v[214:215], v[120:121]
	v_mul_f64 v[208:209], v[154:155], s[30:31]
	v_fma_f64 v[214:215], s[22:23], v[144:145], v[212:213]
	v_add_f64 v[218:219], v[218:219], v[224:225]
	v_mul_f64 v[240:241], v[188:189], s[18:19]
	v_fma_f64 v[246:247], v[172:173], s[6:7], -v[244:245]
	v_add_f64 v[250:251], v[68:69], v[250:251]
	v_fmac_f64_e32 v[202:203], s[38:39], v[158:159]
	v_add_f64 v[120:121], v[206:207], v[120:121]
	v_mul_f64 v[204:205], v[150:151], s[58:59]
	v_fma_f64 v[210:211], s[36:37], v[140:141], v[208:209]
	v_add_f64 v[214:215], v[214:215], v[218:219]
	v_mul_f64 v[236:237], v[186:187], s[30:31]
	v_fma_f64 v[242:243], v[170:171], s[22:23], -v[240:241]
	v_add_f64 v[246:247], v[246:247], v[250:251]
	;; [unrolled: 8-line block ×3, first 2 shown]
	v_add_f64 v[124:125], v[198:199], v[120:121]
	v_mul_f64 v[198:199], v[142:143], s[34:35]
	v_fma_f64 v[202:203], s[16:17], v[134:135], v[200:201]
	v_add_f64 v[206:207], v[206:207], v[210:211]
	v_mul_f64 v[214:215], v[182:183], s[16:17]
	v_fma_f64 v[234:235], s[24:25], v[164:165], v[224:225]
	;; [unrolled: 3-line block ×4, first 2 shown]
	v_add_f64 v[234:235], v[234:235], v[238:239]
	v_fma_f64 v[120:121], s[26:27], v[130:131], v[196:197]
	v_add_f64 v[122:123], v[122:123], v[202:203]
	v_mul_f64 v[202:203], v[178:179], s[26:27]
	v_fma_f64 v[210:211], s[42:43], v[158:159], v[206:207]
	v_add_f64 v[218:219], v[218:219], v[234:235]
	v_add_f64 v[122:123], v[120:121], v[122:123]
	v_fma_f64 v[120:121], s[52:53], v[156:157], v[202:203]
	v_add_f64 v[210:211], v[210:211], v[218:219]
	v_add_f64 v[120:121], v[120:121], v[210:211]
	v_fma_f64 v[210:211], v[144:145], s[22:23], -v[212:213]
	v_fma_f64 v[212:213], v[148:149], s[6:7], -v[216:217]
	;; [unrolled: 1-line block ×3, first 2 shown]
	v_add_f64 v[216:217], v[70:71], v[216:217]
	v_add_f64 v[212:213], v[212:213], v[216:217]
	v_fma_f64 v[208:209], v[140:141], s[36:37], -v[208:209]
	v_add_f64 v[210:211], v[210:211], v[212:213]
	v_fma_f64 v[204:205], v[136:137], s[28:29], -v[204:205]
	v_add_f64 v[208:209], v[208:209], v[210:211]
	v_fma_f64 v[200:201], v[134:135], s[16:17], -v[200:201]
	v_add_f64 v[204:205], v[204:205], v[208:209]
	v_fma_f64 v[198:199], v[132:133], s[14:15], -v[198:199]
	v_add_f64 v[200:201], v[200:201], v[204:205]
	v_fma_f64 v[196:197], v[130:131], s[26:27], -v[196:197]
	v_add_f64 v[198:199], v[198:199], v[200:201]
	v_fmac_f64_e32 v[248:249], s[20:21], v[174:175]
	v_add_f64 v[198:199], v[196:197], v[198:199]
	v_fmac_f64_e32 v[244:245], s[6:7], v[172:173]
	;; [unrolled: 2-line block ×6, first 2 shown]
	v_add_f64 v[196:197], v[224:225], v[196:197]
	v_mul_f64 v[138:139], v[138:139], s[30:31]
	v_mul_f64 v[154:155], v[154:155], s[38:39]
	;; [unrolled: 1-line block ×4, first 2 shown]
	v_add_f64 v[196:197], v[214:215], v[196:197]
	v_fma_f64 v[200:201], s[36:37], v[130:131], v[138:139]
	v_fma_f64 v[208:209], s[6:7], v[140:141], v[154:155]
	;; [unrolled: 1-line block ×4, first 2 shown]
	v_fma_f64 v[130:131], v[130:131], s[36:37], -v[138:139]
	v_fma_f64 v[138:139], v[140:141], s[6:7], -v[154:155]
	;; [unrolled: 1-line block ×4, first 2 shown]
	v_add_f64 v[214:215], v[70:71], v[214:215]
	v_add_f64 v[144:145], v[70:71], v[144:145]
	;; [unrolled: 1-line block ×17, first 2 shown]
	v_fmac_f64_e32 v[206:207], s[34:35], v[158:159]
	v_add_f64 v[2:3], v[6:7], v[2:3]
	v_add_f64 v[6:7], v[72:73], v[68:69]
	v_fmac_f64_e32 v[202:203], s[44:45], v[156:157]
	v_add_f64 v[196:197], v[206:207], v[196:197]
	v_mul_f64 v[142:143], v[142:143], s[24:25]
	v_mul_f64 v[168:169], v[168:169], s[54:55]
	v_add_f64 v[6:7], v[64:65], v[6:7]
	v_add_f64 v[196:197], v[202:203], v[196:197]
	v_fma_f64 v[202:203], s[28:29], v[132:133], v[142:143]
	v_fma_f64 v[132:133], v[132:133], s[28:29], -v[142:143]
	v_fma_f64 v[142:143], v[148:149], s[20:21], -v[168:169]
	v_add_f64 v[0:1], v[0:1], v[6:7]
	v_add_f64 v[142:143], v[142:143], v[144:145]
	;; [unrolled: 1-line block ×3, first 2 shown]
	v_mul_f64 v[150:151], v[150:151], s[10:11]
	v_add_f64 v[140:141], v[140:141], v[142:143]
	v_add_f64 v[0:1], v[20:21], v[0:1]
	v_mul_f64 v[146:147], v[146:147], s[18:19]
	v_fma_f64 v[206:207], s[16:17], v[136:137], v[150:151]
	v_fma_f64 v[136:137], v[136:137], s[16:17], -v[150:151]
	v_add_f64 v[138:139], v[138:139], v[140:141]
	v_add_f64 v[0:1], v[28:29], v[0:1]
	v_fma_f64 v[204:205], s[22:23], v[134:135], v[146:147]
	v_fma_f64 v[134:135], v[134:135], s[22:23], -v[146:147]
	v_add_f64 v[136:137], v[136:137], v[138:139]
	v_add_f64 v[0:1], v[40:41], v[0:1]
	v_mul_f64 v[192:193], v[192:193], s[52:53]
	v_add_f64 v[134:135], v[134:135], v[136:137]
	v_add_f64 v[0:1], v[48:49], v[0:1]
	v_fma_f64 v[212:213], s[20:21], v[148:149], v[168:169]
	v_mul_f64 v[190:191], v[190:191], s[54:55]
	v_fma_f64 v[216:217], v[174:175], s[26:27], -v[192:193]
	v_add_f64 v[132:133], v[132:133], v[134:135]
	v_fmac_f64_e32 v[192:193], s[26:27], v[174:175]
	v_add_f64 v[0:1], v[52:53], v[0:1]
	v_add_f64 v[212:213], v[212:213], v[214:215]
	v_mul_f64 v[188:189], v[188:189], s[42:43]
	v_fma_f64 v[214:215], v[172:173], s[20:21], -v[190:191]
	v_add_f64 v[216:217], v[68:69], v[216:217]
	v_add_f64 v[132:133], v[130:131], v[132:133]
	v_fmac_f64_e32 v[190:191], s[20:21], v[172:173]
	v_add_f64 v[130:131], v[68:69], v[192:193]
	v_add_f64 v[0:1], v[44:45], v[0:1]
	;; [unrolled: 1-line block ×3, first 2 shown]
	v_mul_f64 v[186:187], v[186:187], s[38:39]
	v_fma_f64 v[212:213], v[170:171], s[14:15], -v[188:189]
	v_add_f64 v[214:215], v[214:215], v[216:217]
	v_fmac_f64_e32 v[188:189], s[14:15], v[170:171]
	v_add_f64 v[130:131], v[190:191], v[130:131]
	v_add_f64 v[0:1], v[36:37], v[0:1]
	;; [unrolled: 1-line block ×3, first 2 shown]
	v_mul_f64 v[184:185], v[184:185], s[16:17]
	v_fma_f64 v[210:211], v[166:167], s[6:7], -v[186:187]
	v_add_f64 v[212:213], v[212:213], v[214:215]
	v_fmac_f64_e32 v[186:187], s[6:7], v[166:167]
	v_add_f64 v[130:131], v[188:189], v[130:131]
	v_add_f64 v[0:1], v[32:33], v[0:1]
	v_add_f64 v[206:207], v[206:207], v[208:209]
	v_mul_f64 v[182:183], v[182:183], s[22:23]
	v_fma_f64 v[208:209], s[40:41], v[164:165], v[184:185]
	v_add_f64 v[210:211], v[210:211], v[212:213]
	v_fmac_f64_e32 v[184:185], s[10:11], v[164:165]
	v_add_f64 v[130:131], v[186:187], v[130:131]
	v_add_f64 v[0:1], v[24:25], v[0:1]
	v_add_f64 v[204:205], v[204:205], v[206:207]
	v_mul_f64 v[180:181], v[180:181], s[28:29]
	v_fma_f64 v[206:207], s[46:47], v[162:163], v[182:183]
	;; [unrolled: 7-line block ×3, first 2 shown]
	v_add_f64 v[206:207], v[206:207], v[208:209]
	v_fmac_f64_e32 v[180:181], s[24:25], v[158:159]
	v_add_f64 v[130:131], v[182:183], v[130:131]
	v_add_f64 v[0:1], v[8:9], v[0:1]
	;; [unrolled: 1-line block ×3, first 2 shown]
	v_fma_f64 v[200:201], s[56:57], v[156:157], v[178:179]
	v_add_f64 v[204:205], v[204:205], v[206:207]
	v_fmac_f64_e32 v[178:179], s[30:31], v[156:157]
	v_add_f64 v[130:131], v[180:181], v[130:131]
	v_add_f64 v[0:1], v[4:5], v[0:1]
	v_lshl_add_u32 v4, v222, 4, v232
	v_add_f64 v[200:201], v[200:201], v[204:205]
	v_add_f64 v[130:131], v[178:179], v[130:131]
	ds_write_b128 v4, v[0:3]
	ds_write_b128 v4, v[130:133] offset:16
	ds_write_b128 v4, v[196:199] offset:32
	;; [unrolled: 1-line block ×16, first 2 shown]
.LBB0_13:
	s_or_b64 exec, exec, s[4:5]
	s_waitcnt lgkmcnt(0)
	s_barrier
	ds_read_b128 v[0:3], v195 offset:272
	ds_read_b128 v[4:7], v195
	ds_read_b128 v[8:11], v195 offset:544
	s_mov_b32 s4, 0xe8584caa
	s_mov_b32 s5, 0xbfebb67a
	s_waitcnt lgkmcnt(2)
	v_mul_f64 v[12:13], v[62:63], v[2:3]
	v_fmac_f64_e32 v[12:13], v[60:61], v[0:1]
	v_mul_f64 v[0:1], v[62:63], v[0:1]
	s_waitcnt lgkmcnt(0)
	v_mul_f64 v[16:17], v[58:59], v[10:11]
	v_fma_f64 v[14:15], v[60:61], v[2:3], -v[0:1]
	v_fmac_f64_e32 v[16:17], v[56:57], v[8:9]
	v_mul_f64 v[0:1], v[58:59], v[8:9]
	v_fma_f64 v[10:11], v[56:57], v[10:11], -v[0:1]
	v_add_f64 v[2:3], v[12:13], v[16:17]
	v_add_f64 v[0:1], v[4:5], v[12:13]
	v_fmac_f64_e32 v[4:5], -0.5, v[2:3]
	v_add_f64 v[2:3], v[14:15], -v[10:11]
	s_mov_b32 s7, 0x3febb67a
	s_mov_b32 s6, s4
	v_fma_f64 v[8:9], s[4:5], v[2:3], v[4:5]
	v_fmac_f64_e32 v[4:5], s[6:7], v[2:3]
	v_add_f64 v[2:3], v[6:7], v[14:15]
	v_add_f64 v[2:3], v[2:3], v[10:11]
	;; [unrolled: 1-line block ×4, first 2 shown]
	v_fmac_f64_e32 v[6:7], -0.5, v[10:11]
	v_add_f64 v[12:13], v[12:13], -v[16:17]
	v_fma_f64 v[10:11], s[6:7], v[12:13], v[6:7]
	v_fmac_f64_e32 v[6:7], s[4:5], v[12:13]
	ds_write_b128 v194, v[0:3]
	ds_write_b128 v194, v[8:11] offset:272
	ds_write_b128 v194, v[4:7] offset:544
	s_waitcnt lgkmcnt(0)
	s_barrier
	s_and_b64 exec, exec, vcc
	s_cbranch_execz .LBB0_15
; %bb.14:
	global_load_dwordx4 v[4:7], v226, s[8:9]
	v_mad_u64_u32 v[16:17], s[4:5], s2, v128, 0
	v_mad_u64_u32 v[18:19], s[6:7], s0, v230, 0
	v_lshl_add_u32 v2, v231, 4, v226
	v_mov_b32_e32 v20, v17
	ds_read_b128 v[8:11], v194
	ds_read_b128 v[12:15], v2 offset:48
	v_mov_b32_e32 v22, v19
	v_mad_u64_u32 v[20:21], s[2:3], s3, v128, v[20:21]
	v_mov_b32_e32 v0, s12
	v_mov_b32_e32 v1, s13
	v_mad_u64_u32 v[22:23], s[2:3], s1, v230, v[22:23]
	v_mov_b32_e32 v17, v20
	v_mov_b32_e32 v19, v22
	v_lshl_add_u64 v[0:1], v[16:17], 4, v[0:1]
	s_mov_b32 s4, 0x14141414
	v_lshl_add_u64 v[16:17], v[18:19], 4, v[0:1]
	s_mov_b32 s5, 0x3f941414
	s_mul_i32 s2, s1, 48
	v_mov_b32_e32 v3, 0x60
	s_mul_i32 s3, s1, 0x60
	s_waitcnt vmcnt(0) lgkmcnt(1)
	v_mul_f64 v[18:19], v[10:11], v[6:7]
	v_mul_f64 v[6:7], v[8:9], v[6:7]
	v_fmac_f64_e32 v[18:19], v[8:9], v[4:5]
	v_fma_f64 v[6:7], v[4:5], v[10:11], -v[6:7]
	v_mul_f64 v[4:5], v[18:19], s[4:5]
	v_mul_f64 v[6:7], v[6:7], s[4:5]
	global_store_dwordx4 v[16:17], v[4:7], off
	global_load_dwordx4 v[4:7], v226, s[8:9] offset:48
	v_mad_u64_u32 v[16:17], s[6:7], s0, 48, v[16:17]
	v_add_u32_e32 v17, s2, v17
	s_waitcnt vmcnt(0) lgkmcnt(0)
	v_mul_f64 v[8:9], v[14:15], v[6:7]
	v_mul_f64 v[6:7], v[12:13], v[6:7]
	v_fmac_f64_e32 v[8:9], v[12:13], v[4:5]
	v_fma_f64 v[6:7], v[4:5], v[14:15], -v[6:7]
	v_mul_f64 v[4:5], v[8:9], s[4:5]
	v_mul_f64 v[6:7], v[6:7], s[4:5]
	global_store_dwordx4 v[16:17], v[4:7], off
	global_load_dwordx4 v[4:7], v226, s[8:9] offset:96
	ds_read_b128 v[8:11], v2 offset:96
	ds_read_b128 v[12:15], v2 offset:144
	v_mad_u64_u32 v[16:17], s[6:7], s0, 48, v[16:17]
	v_add_u32_e32 v17, s2, v17
	s_waitcnt vmcnt(0) lgkmcnt(1)
	v_mul_f64 v[18:19], v[10:11], v[6:7]
	v_mul_f64 v[6:7], v[8:9], v[6:7]
	v_fmac_f64_e32 v[18:19], v[8:9], v[4:5]
	v_fma_f64 v[6:7], v[4:5], v[10:11], -v[6:7]
	v_mul_f64 v[4:5], v[18:19], s[4:5]
	v_mul_f64 v[6:7], v[6:7], s[4:5]
	global_store_dwordx4 v[16:17], v[4:7], off
	global_load_dwordx4 v[4:7], v226, s[8:9] offset:144
	v_mad_u64_u32 v[16:17], s[6:7], s0, 48, v[16:17]
	v_add_u32_e32 v17, s2, v17
	v_mad_u64_u32 v[18:19], s[6:7], s0, v229, 0
	v_mov_b32_e32 v20, v19
	v_mad_u64_u32 v[20:21], s[6:7], s1, v229, v[20:21]
	v_mov_b32_e32 v19, v20
	v_lshl_add_u64 v[18:19], v[18:19], 4, v[0:1]
	s_waitcnt vmcnt(0) lgkmcnt(0)
	v_mul_f64 v[8:9], v[14:15], v[6:7]
	v_mul_f64 v[6:7], v[12:13], v[6:7]
	v_fmac_f64_e32 v[8:9], v[12:13], v[4:5]
	v_fma_f64 v[6:7], v[4:5], v[14:15], -v[6:7]
	v_mul_f64 v[4:5], v[8:9], s[4:5]
	v_mul_f64 v[6:7], v[6:7], s[4:5]
	global_store_dwordx4 v[16:17], v[4:7], off
	global_load_dwordx4 v[4:7], v226, s[8:9] offset:192
	ds_read_b128 v[8:11], v2 offset:192
	ds_read_b128 v[12:15], v2 offset:240
	v_mad_u64_u32 v[16:17], s[6:7], s0, v3, v[16:17]
	v_add_u32_e32 v17, s3, v17
	s_waitcnt vmcnt(0) lgkmcnt(1)
	v_mul_f64 v[20:21], v[10:11], v[6:7]
	v_mul_f64 v[6:7], v[8:9], v[6:7]
	v_fmac_f64_e32 v[20:21], v[8:9], v[4:5]
	v_fma_f64 v[6:7], v[4:5], v[10:11], -v[6:7]
	v_mul_f64 v[4:5], v[20:21], s[4:5]
	v_mul_f64 v[6:7], v[6:7], s[4:5]
	global_store_dwordx4 v[18:19], v[4:7], off
	global_load_dwordx4 v[4:7], v226, s[8:9] offset:240
	s_waitcnt vmcnt(0) lgkmcnt(0)
	v_mul_f64 v[8:9], v[14:15], v[6:7]
	v_mul_f64 v[6:7], v[12:13], v[6:7]
	v_fmac_f64_e32 v[8:9], v[12:13], v[4:5]
	v_fma_f64 v[6:7], v[4:5], v[14:15], -v[6:7]
	v_mul_f64 v[4:5], v[8:9], s[4:5]
	v_mul_f64 v[6:7], v[6:7], s[4:5]
	global_store_dwordx4 v[16:17], v[4:7], off
	global_load_dwordx4 v[4:7], v226, s[8:9] offset:288
	ds_read_b128 v[8:11], v2 offset:288
	ds_read_b128 v[12:15], v2 offset:336
	v_mad_u64_u32 v[16:17], s[6:7], s0, 48, v[16:17]
	v_add_u32_e32 v17, s2, v17
	s_waitcnt vmcnt(0) lgkmcnt(1)
	v_mul_f64 v[18:19], v[10:11], v[6:7]
	v_mul_f64 v[6:7], v[8:9], v[6:7]
	v_fmac_f64_e32 v[18:19], v[8:9], v[4:5]
	v_fma_f64 v[6:7], v[4:5], v[10:11], -v[6:7]
	v_mul_f64 v[4:5], v[18:19], s[4:5]
	v_mul_f64 v[6:7], v[6:7], s[4:5]
	global_store_dwordx4 v[16:17], v[4:7], off
	global_load_dwordx4 v[4:7], v226, s[8:9] offset:336
	v_mad_u64_u32 v[16:17], s[6:7], s0, 48, v[16:17]
	v_add_u32_e32 v17, s2, v17
	v_mad_u64_u32 v[18:19], s[6:7], s0, v228, 0
	v_mov_b32_e32 v20, v19
	v_mad_u64_u32 v[20:21], s[6:7], s1, v228, v[20:21]
	v_mov_b32_e32 v19, v20
	v_lshl_add_u64 v[18:19], v[18:19], 4, v[0:1]
	s_waitcnt vmcnt(0) lgkmcnt(0)
	v_mul_f64 v[8:9], v[14:15], v[6:7]
	v_mul_f64 v[6:7], v[12:13], v[6:7]
	v_fmac_f64_e32 v[8:9], v[12:13], v[4:5]
	v_fma_f64 v[6:7], v[4:5], v[14:15], -v[6:7]
	v_mul_f64 v[4:5], v[8:9], s[4:5]
	v_mul_f64 v[6:7], v[6:7], s[4:5]
	global_store_dwordx4 v[16:17], v[4:7], off
	global_load_dwordx4 v[4:7], v226, s[8:9] offset:384
	ds_read_b128 v[8:11], v2 offset:384
	ds_read_b128 v[12:15], v2 offset:432
	v_mad_u64_u32 v[16:17], s[6:7], s0, v3, v[16:17]
	v_add_u32_e32 v17, s3, v17
	s_waitcnt vmcnt(0) lgkmcnt(1)
	v_mul_f64 v[20:21], v[10:11], v[6:7]
	v_mul_f64 v[6:7], v[8:9], v[6:7]
	v_fmac_f64_e32 v[20:21], v[8:9], v[4:5]
	v_fma_f64 v[6:7], v[4:5], v[10:11], -v[6:7]
	v_mul_f64 v[4:5], v[20:21], s[4:5]
	v_mul_f64 v[6:7], v[6:7], s[4:5]
	global_store_dwordx4 v[18:19], v[4:7], off
	global_load_dwordx4 v[4:7], v226, s[8:9] offset:432
	s_waitcnt vmcnt(0) lgkmcnt(0)
	v_mul_f64 v[8:9], v[14:15], v[6:7]
	v_mul_f64 v[6:7], v[12:13], v[6:7]
	v_fmac_f64_e32 v[8:9], v[12:13], v[4:5]
	v_fma_f64 v[6:7], v[4:5], v[14:15], -v[6:7]
	v_mul_f64 v[4:5], v[8:9], s[4:5]
	v_mul_f64 v[6:7], v[6:7], s[4:5]
	global_store_dwordx4 v[16:17], v[4:7], off
	global_load_dwordx4 v[4:7], v226, s[8:9] offset:480
	ds_read_b128 v[8:11], v2 offset:480
	ds_read_b128 v[12:15], v2 offset:528
	v_mad_u64_u32 v[16:17], s[6:7], s0, 48, v[16:17]
	v_add_u32_e32 v17, s2, v17
	s_waitcnt vmcnt(0) lgkmcnt(1)
	v_mul_f64 v[18:19], v[10:11], v[6:7]
	v_mul_f64 v[6:7], v[8:9], v[6:7]
	v_fmac_f64_e32 v[18:19], v[8:9], v[4:5]
	v_fma_f64 v[6:7], v[4:5], v[10:11], -v[6:7]
	v_mul_f64 v[4:5], v[18:19], s[4:5]
	v_mul_f64 v[6:7], v[6:7], s[4:5]
	global_store_dwordx4 v[16:17], v[4:7], off
	global_load_dwordx4 v[4:7], v226, s[8:9] offset:528
	v_mad_u64_u32 v[16:17], s[6:7], s0, 48, v[16:17]
	v_add_u32_e32 v17, s2, v17
	v_mad_u64_u32 v[18:19], s[6:7], s0, v227, 0
	v_mov_b32_e32 v20, v19
	v_mad_u64_u32 v[20:21], s[6:7], s1, v227, v[20:21]
	v_mov_b32_e32 v19, v20
	v_lshl_add_u64 v[18:19], v[18:19], 4, v[0:1]
	s_waitcnt vmcnt(0) lgkmcnt(0)
	v_mul_f64 v[8:9], v[14:15], v[6:7]
	v_mul_f64 v[6:7], v[12:13], v[6:7]
	v_fmac_f64_e32 v[8:9], v[12:13], v[4:5]
	v_fma_f64 v[6:7], v[4:5], v[14:15], -v[6:7]
	v_mul_f64 v[4:5], v[8:9], s[4:5]
	v_mul_f64 v[6:7], v[6:7], s[4:5]
	global_store_dwordx4 v[16:17], v[4:7], off
	global_load_dwordx4 v[4:7], v226, s[8:9] offset:576
	ds_read_b128 v[8:11], v2 offset:576
	ds_read_b128 v[12:15], v2 offset:624
	v_mad_u64_u32 v[16:17], s[6:7], s0, v3, v[16:17]
	v_add_u32_e32 v17, s3, v17
	s_waitcnt vmcnt(0) lgkmcnt(1)
	v_mul_f64 v[20:21], v[10:11], v[6:7]
	v_mul_f64 v[6:7], v[8:9], v[6:7]
	v_fmac_f64_e32 v[20:21], v[8:9], v[4:5]
	v_fma_f64 v[6:7], v[4:5], v[10:11], -v[6:7]
	v_mul_f64 v[4:5], v[20:21], s[4:5]
	v_mul_f64 v[6:7], v[6:7], s[4:5]
	global_store_dwordx4 v[18:19], v[4:7], off
	global_load_dwordx4 v[4:7], v226, s[8:9] offset:624
	s_waitcnt vmcnt(0) lgkmcnt(0)
	v_mul_f64 v[8:9], v[14:15], v[6:7]
	v_mul_f64 v[6:7], v[12:13], v[6:7]
	v_fmac_f64_e32 v[8:9], v[12:13], v[4:5]
	v_fma_f64 v[6:7], v[4:5], v[14:15], -v[6:7]
	v_mul_f64 v[4:5], v[8:9], s[4:5]
	v_mul_f64 v[6:7], v[6:7], s[4:5]
	global_store_dwordx4 v[16:17], v[4:7], off
	global_load_dwordx4 v[4:7], v226, s[8:9] offset:672
	ds_read_b128 v[8:11], v2 offset:672
	ds_read_b128 v[12:15], v2 offset:720
	v_mad_u64_u32 v[16:17], s[6:7], s0, 48, v[16:17]
	v_add_u32_e32 v17, s2, v17
	s_waitcnt vmcnt(0) lgkmcnt(1)
	v_mul_f64 v[18:19], v[10:11], v[6:7]
	v_mul_f64 v[6:7], v[8:9], v[6:7]
	v_fmac_f64_e32 v[18:19], v[8:9], v[4:5]
	v_fma_f64 v[6:7], v[4:5], v[10:11], -v[6:7]
	v_mul_f64 v[4:5], v[18:19], s[4:5]
	v_mul_f64 v[6:7], v[6:7], s[4:5]
	global_store_dwordx4 v[16:17], v[4:7], off
	global_load_dwordx4 v[4:7], v226, s[8:9] offset:720
	v_mad_u64_u32 v[8:9], s[6:7], s0, 48, v[16:17]
	v_add_u32_e32 v9, s2, v9
	s_waitcnt vmcnt(0) lgkmcnt(0)
	v_mul_f64 v[10:11], v[14:15], v[6:7]
	v_mul_f64 v[6:7], v[12:13], v[6:7]
	v_fmac_f64_e32 v[10:11], v[12:13], v[4:5]
	v_fma_f64 v[6:7], v[4:5], v[14:15], -v[6:7]
	v_mul_f64 v[4:5], v[10:11], s[4:5]
	v_mul_f64 v[6:7], v[6:7], s[4:5]
	global_store_dwordx4 v[8:9], v[4:7], off
	global_load_dwordx4 v[4:7], v226, s[8:9] offset:768
	ds_read_b128 v[8:11], v2 offset:768
	v_mad_u64_u32 v[12:13], s[2:3], s0, v129, 0
	v_mov_b32_e32 v2, v13
	v_mad_u64_u32 v[2:3], s[0:1], s1, v129, v[2:3]
	v_mov_b32_e32 v13, v2
	v_lshl_add_u64 v[0:1], v[12:13], 4, v[0:1]
	s_waitcnt vmcnt(0) lgkmcnt(0)
	v_mul_f64 v[2:3], v[10:11], v[6:7]
	v_mul_f64 v[6:7], v[8:9], v[6:7]
	v_fmac_f64_e32 v[2:3], v[8:9], v[4:5]
	v_fma_f64 v[4:5], v[4:5], v[10:11], -v[6:7]
	v_mul_f64 v[2:3], v[2:3], s[4:5]
	v_mul_f64 v[4:5], v[4:5], s[4:5]
	global_store_dwordx4 v[0:1], v[2:5], off
.LBB0_15:
	s_endpgm
	.section	.rodata,"a",@progbits
	.p2align	6, 0x0
	.amdhsa_kernel bluestein_single_fwd_len51_dim1_dp_op_CI_CI
		.amdhsa_group_segment_fixed_size 12240
		.amdhsa_private_segment_fixed_size 0
		.amdhsa_kernarg_size 104
		.amdhsa_user_sgpr_count 2
		.amdhsa_user_sgpr_dispatch_ptr 0
		.amdhsa_user_sgpr_queue_ptr 0
		.amdhsa_user_sgpr_kernarg_segment_ptr 1
		.amdhsa_user_sgpr_dispatch_id 0
		.amdhsa_user_sgpr_kernarg_preload_length 0
		.amdhsa_user_sgpr_kernarg_preload_offset 0
		.amdhsa_user_sgpr_private_segment_size 0
		.amdhsa_uses_dynamic_stack 0
		.amdhsa_enable_private_segment 0
		.amdhsa_system_sgpr_workgroup_id_x 1
		.amdhsa_system_sgpr_workgroup_id_y 0
		.amdhsa_system_sgpr_workgroup_id_z 0
		.amdhsa_system_sgpr_workgroup_info 0
		.amdhsa_system_vgpr_workitem_id 0
		.amdhsa_next_free_vgpr 254
		.amdhsa_next_free_sgpr 60
		.amdhsa_accum_offset 256
		.amdhsa_reserve_vcc 1
		.amdhsa_float_round_mode_32 0
		.amdhsa_float_round_mode_16_64 0
		.amdhsa_float_denorm_mode_32 3
		.amdhsa_float_denorm_mode_16_64 3
		.amdhsa_dx10_clamp 1
		.amdhsa_ieee_mode 1
		.amdhsa_fp16_overflow 0
		.amdhsa_tg_split 0
		.amdhsa_exception_fp_ieee_invalid_op 0
		.amdhsa_exception_fp_denorm_src 0
		.amdhsa_exception_fp_ieee_div_zero 0
		.amdhsa_exception_fp_ieee_overflow 0
		.amdhsa_exception_fp_ieee_underflow 0
		.amdhsa_exception_fp_ieee_inexact 0
		.amdhsa_exception_int_div_zero 0
	.end_amdhsa_kernel
	.text
.Lfunc_end0:
	.size	bluestein_single_fwd_len51_dim1_dp_op_CI_CI, .Lfunc_end0-bluestein_single_fwd_len51_dim1_dp_op_CI_CI
                                        ; -- End function
	.section	.AMDGPU.csdata,"",@progbits
; Kernel info:
; codeLenInByte = 17064
; NumSgprs: 66
; NumVgprs: 254
; NumAgprs: 0
; TotalNumVgprs: 254
; ScratchSize: 0
; MemoryBound: 0
; FloatMode: 240
; IeeeMode: 1
; LDSByteSize: 12240 bytes/workgroup (compile time only)
; SGPRBlocks: 8
; VGPRBlocks: 31
; NumSGPRsForWavesPerEU: 66
; NumVGPRsForWavesPerEU: 254
; AccumOffset: 256
; Occupancy: 2
; WaveLimiterHint : 1
; COMPUTE_PGM_RSRC2:SCRATCH_EN: 0
; COMPUTE_PGM_RSRC2:USER_SGPR: 2
; COMPUTE_PGM_RSRC2:TRAP_HANDLER: 0
; COMPUTE_PGM_RSRC2:TGID_X_EN: 1
; COMPUTE_PGM_RSRC2:TGID_Y_EN: 0
; COMPUTE_PGM_RSRC2:TGID_Z_EN: 0
; COMPUTE_PGM_RSRC2:TIDIG_COMP_CNT: 0
; COMPUTE_PGM_RSRC3_GFX90A:ACCUM_OFFSET: 63
; COMPUTE_PGM_RSRC3_GFX90A:TG_SPLIT: 0
	.text
	.p2alignl 6, 3212836864
	.fill 256, 4, 3212836864
	.type	__hip_cuid_cedf6de444f8ec26,@object ; @__hip_cuid_cedf6de444f8ec26
	.section	.bss,"aw",@nobits
	.globl	__hip_cuid_cedf6de444f8ec26
__hip_cuid_cedf6de444f8ec26:
	.byte	0                               ; 0x0
	.size	__hip_cuid_cedf6de444f8ec26, 1

	.ident	"AMD clang version 19.0.0git (https://github.com/RadeonOpenCompute/llvm-project roc-6.4.0 25133 c7fe45cf4b819c5991fe208aaa96edf142730f1d)"
	.section	".note.GNU-stack","",@progbits
	.addrsig
	.addrsig_sym __hip_cuid_cedf6de444f8ec26
	.amdgpu_metadata
---
amdhsa.kernels:
  - .agpr_count:     0
    .args:
      - .actual_access:  read_only
        .address_space:  global
        .offset:         0
        .size:           8
        .value_kind:     global_buffer
      - .actual_access:  read_only
        .address_space:  global
        .offset:         8
        .size:           8
        .value_kind:     global_buffer
      - .actual_access:  read_only
        .address_space:  global
        .offset:         16
        .size:           8
        .value_kind:     global_buffer
      - .actual_access:  read_only
        .address_space:  global
        .offset:         24
        .size:           8
        .value_kind:     global_buffer
      - .actual_access:  read_only
        .address_space:  global
        .offset:         32
        .size:           8
        .value_kind:     global_buffer
      - .offset:         40
        .size:           8
        .value_kind:     by_value
      - .address_space:  global
        .offset:         48
        .size:           8
        .value_kind:     global_buffer
      - .address_space:  global
        .offset:         56
        .size:           8
        .value_kind:     global_buffer
      - .address_space:  global
        .offset:         64
        .size:           8
        .value_kind:     global_buffer
      - .address_space:  global
        .offset:         72
        .size:           8
        .value_kind:     global_buffer
      - .offset:         80
        .size:           4
        .value_kind:     by_value
      - .address_space:  global
        .offset:         88
        .size:           8
        .value_kind:     global_buffer
      - .address_space:  global
        .offset:         96
        .size:           8
        .value_kind:     global_buffer
    .group_segment_fixed_size: 12240
    .kernarg_segment_align: 8
    .kernarg_segment_size: 104
    .language:       OpenCL C
    .language_version:
      - 2
      - 0
    .max_flat_workgroup_size: 255
    .name:           bluestein_single_fwd_len51_dim1_dp_op_CI_CI
    .private_segment_fixed_size: 0
    .sgpr_count:     66
    .sgpr_spill_count: 0
    .symbol:         bluestein_single_fwd_len51_dim1_dp_op_CI_CI.kd
    .uniform_work_group_size: 1
    .uses_dynamic_stack: false
    .vgpr_count:     254
    .vgpr_spill_count: 0
    .wavefront_size: 64
amdhsa.target:   amdgcn-amd-amdhsa--gfx950
amdhsa.version:
  - 1
  - 2
...

	.end_amdgpu_metadata
